;; amdgpu-corpus repo=ROCm/rocFFT kind=compiled arch=gfx950 opt=O3
	.text
	.amdgcn_target "amdgcn-amd-amdhsa--gfx950"
	.amdhsa_code_object_version 6
	.protected	bluestein_single_fwd_len1170_dim1_dp_op_CI_CI ; -- Begin function bluestein_single_fwd_len1170_dim1_dp_op_CI_CI
	.globl	bluestein_single_fwd_len1170_dim1_dp_op_CI_CI
	.p2align	8
	.type	bluestein_single_fwd_len1170_dim1_dp_op_CI_CI,@function
bluestein_single_fwd_len1170_dim1_dp_op_CI_CI: ; @bluestein_single_fwd_len1170_dim1_dp_op_CI_CI
; %bb.0:
	s_load_dwordx4 s[4:7], s[0:1], 0x28
	v_mul_u32_u24_e32 v1, 0x231, v0
	v_mov_b32_e32 v165, 0
	v_add_u32_sdwa v6, s2, v1 dst_sel:DWORD dst_unused:UNUSED_PAD src0_sel:DWORD src1_sel:WORD_1
	v_mov_b32_e32 v7, v165
	s_waitcnt lgkmcnt(0)
	v_cmp_gt_u64_e32 vcc, s[4:5], v[6:7]
	s_and_saveexec_b64 s[2:3], vcc
	s_cbranch_execz .LBB0_26
; %bb.1:
	s_load_dwordx4 s[12:15], s[0:1], 0x18
	s_load_dwordx4 s[8:11], s[0:1], 0x0
	v_mov_b32_e32 v2, s6
	v_mov_b32_e32 v3, s7
	s_movk_i32 s2, 0x75
	s_waitcnt lgkmcnt(0)
	s_load_dwordx4 s[4:7], s[12:13], 0x0
	v_mul_lo_u16_sdwa v1, v1, s2 dst_sel:DWORD dst_unused:UNUSED_PAD src0_sel:WORD_1 src1_sel:DWORD
	v_sub_u16_e32 v164, v0, v1
	v_accvgpr_write_b32 a38, v6
	v_mov_b32_e32 v30, 0x2490
	s_waitcnt lgkmcnt(0)
	v_mad_u64_u32 v[0:1], s[2:3], s6, v6, 0
	v_mov_b32_e32 v4, v1
	v_mad_u64_u32 v[4:5], s[2:3], s7, v6, v[4:5]
	v_mov_b32_e32 v1, v4
	v_mad_u64_u32 v[4:5], s[2:3], s4, v164, 0
	v_mov_b32_e32 v6, v5
	v_mad_u64_u32 v[6:7], s[2:3], s5, v164, v[6:7]
	v_mov_b32_e32 v5, v6
	v_lshl_add_u64 v[0:1], v[0:1], 4, v[2:3]
	v_lshl_add_u64 v[2:3], v[4:5], 4, v[0:1]
	global_load_dwordx4 v[40:43], v[2:3], off
	v_lshlrev_b32_e32 v236, 4, v164
	v_mov_b32_e32 v237, v165
	v_mad_u64_u32 v[2:3], s[2:3], s4, v30, v[2:3]
	v_lshl_add_u64 v[0:1], s[8:9], 0, v[236:237]
	s_mul_i32 s2, s5, 0x2490
	s_movk_i32 s3, 0x2000
	v_add_u32_e32 v3, s2, v3
	v_add_co_u32_e32 v4, vcc, s3, v0
	v_mov_b32_e32 v28, 0xffffe2c0
	s_mul_i32 s3, s5, 0xffffe2c0
	v_mad_u64_u32 v[6:7], s[6:7], s4, v28, v[2:3]
	s_sub_i32 s3, s3, s4
	global_load_dwordx4 v[72:75], v236, s[8:9]
	v_add_u32_e32 v7, s3, v7
	v_mad_u64_u32 v[10:11], s[6:7], s4, v30, v[6:7]
	v_addc_co_u32_e32 v5, vcc, 0, v1, vcc
	global_load_dwordx4 v[48:51], v[2:3], off
	global_load_dwordx4 v[44:47], v[6:7], off
	global_load_dwordx4 v[34:37], v236, s[8:9] offset:1872
	global_load_dwordx4 v[52:55], v[4:5], off offset:1168
	v_add_u32_e32 v11, s2, v11
	v_mad_u64_u32 v[12:13], s[6:7], s4, v28, v[10:11]
	global_load_dwordx4 v[56:59], v[4:5], off offset:3040
	v_add_u32_e32 v13, s3, v13
	v_mad_u64_u32 v[14:15], s[6:7], s4, v30, v[12:13]
	global_load_dwordx4 v[2:5], v[10:11], off
	global_load_dwordx4 v[6:9], v[12:13], off
	global_load_dwordx4 v[60:63], v236, s[8:9] offset:3744
	v_add_u32_e32 v15, s2, v15
	s_movk_i32 s5, 0x3000
	v_add_co_u32_e32 v22, vcc, s5, v0
	v_mad_u64_u32 v[18:19], s[6:7], s4, v28, v[14:15]
	s_nop 0
	v_addc_co_u32_e32 v23, vcc, 0, v1, vcc
	v_add_u32_e32 v19, s3, v19
	s_movk_i32 s5, 0x1000
	global_load_dwordx4 v[10:13], v[14:15], off
	global_load_dwordx4 v[64:67], v[22:23], off offset:816
	v_add_co_u32_e32 v26, vcc, s5, v0
	v_mad_u64_u32 v[24:25], s[6:7], s4, v30, v[18:19]
	s_nop 0
	v_addc_co_u32_e32 v27, vcc, 0, v1, vcc
	global_load_dwordx4 v[76:79], v[26:27], off offset:1520
	v_add_u32_e32 v25, s2, v25
	global_load_dwordx4 v[14:17], v[18:19], off
	v_mad_u64_u32 v[28:29], s[6:7], s4, v28, v[24:25]
	v_add_u32_e32 v29, s3, v29
	global_load_dwordx4 v[18:21], v[24:25], off
	global_load_dwordx4 v[68:71], v[22:23], off offset:2688
	s_nop 0
	global_load_dwordx4 v[22:25], v[28:29], off
	global_load_dwordx4 v[80:83], v[26:27], off offset:3392
	v_mad_u64_u32 v[26:27], s[4:5], s4, v30, v[28:29]
	v_add_u32_e32 v27, s2, v27
	s_movk_i32 s2, 0x4000
	v_add_co_u32_e32 v0, vcc, s2, v0
	global_load_dwordx4 v[26:29], v[26:27], off
	s_nop 0
	v_addc_co_u32_e32 v1, vcc, 0, v1, vcc
	global_load_dwordx4 v[84:87], v[0:1], off offset:464
	s_load_dwordx2 s[12:13], s[0:1], 0x38
	s_load_dwordx4 s[4:7], s[14:15], 0x0
	s_mov_b64 s[0:1], 0x75
	v_lshl_add_u64 v[172:173], v[164:165], 0, s[0:1]
	s_mov_b64 s[0:1], 0xea
	v_lshl_add_u64 v[174:175], v[164:165], 0, s[0:1]
	s_mov_b64 s[0:1], 0x15f
                                        ; implicit-def: $vgpr128_vgpr129
                                        ; implicit-def: $vgpr132_vgpr133
                                        ; implicit-def: $vgpr136_vgpr137
	s_waitcnt vmcnt(18)
	v_accvgpr_write_b32 a26, v72
	v_mul_f64 v[30:31], v[42:43], v[74:75]
	v_mul_f64 v[0:1], v[40:41], v[74:75]
	v_fmac_f64_e32 v[30:31], v[40:41], v[72:73]
	v_fma_f64 v[32:33], v[42:43], v[72:73], -v[0:1]
	ds_write_b128 v236, v[30:33]
	s_waitcnt vmcnt(14)
	v_mul_f64 v[30:31], v[50:51], v[54:55]
	v_mul_f64 v[0:1], v[48:49], v[54:55]
	v_fmac_f64_e32 v[30:31], v[48:49], v[52:53]
	v_fma_f64 v[32:33], v[50:51], v[52:53], -v[0:1]
	v_mul_f64 v[0:1], v[44:45], v[36:37]
	ds_write_b128 v236, v[30:33] offset:9360
	v_fma_f64 v[32:33], v[46:47], v[34:35], -v[0:1]
	s_waitcnt vmcnt(12)
	v_mul_f64 v[0:1], v[4:5], v[58:59]
	v_fmac_f64_e32 v[0:1], v[2:3], v[56:57]
	v_mul_f64 v[2:3], v[2:3], v[58:59]
	v_fma_f64 v[2:3], v[4:5], v[56:57], -v[2:3]
	ds_write_b128 v236, v[0:3] offset:11232
	s_waitcnt vmcnt(10)
	v_mul_f64 v[0:1], v[8:9], v[62:63]
	v_mul_f64 v[2:3], v[6:7], v[62:63]
	v_fmac_f64_e32 v[0:1], v[6:7], v[60:61]
	v_fma_f64 v[2:3], v[8:9], v[60:61], -v[2:3]
	ds_write_b128 v236, v[0:3] offset:3744
	v_mul_f64 v[30:31], v[46:47], v[36:37]
	v_fmac_f64_e32 v[30:31], v[44:45], v[34:35]
	v_accvgpr_write_b32 a0, v34
	s_waitcnt vmcnt(8)
	v_mul_f64 v[0:1], v[12:13], v[66:67]
	v_mul_f64 v[2:3], v[10:11], v[66:67]
	v_fmac_f64_e32 v[0:1], v[10:11], v[64:65]
	v_fma_f64 v[2:3], v[12:13], v[64:65], -v[2:3]
	ds_write_b128 v236, v[0:3] offset:13104
	v_accvgpr_write_b32 a1, v35
	v_accvgpr_write_b32 a2, v36
	;; [unrolled: 1-line block ×3, first 2 shown]
	ds_write_b128 v236, v[30:33] offset:1872
	s_waitcnt vmcnt(6)
	v_mul_f64 v[0:1], v[16:17], v[78:79]
	v_mul_f64 v[2:3], v[14:15], v[78:79]
	v_fmac_f64_e32 v[0:1], v[14:15], v[76:77]
	v_fma_f64 v[2:3], v[16:17], v[76:77], -v[2:3]
	ds_write_b128 v236, v[0:3] offset:5616
	s_waitcnt vmcnt(4)
	v_mul_f64 v[0:1], v[20:21], v[70:71]
	v_mul_f64 v[2:3], v[18:19], v[70:71]
	v_fmac_f64_e32 v[0:1], v[18:19], v[68:69]
	v_fma_f64 v[2:3], v[20:21], v[68:69], -v[2:3]
	;; [unrolled: 6-line block ×4, first 2 shown]
	ds_write_b128 v236, v[0:3] offset:16848
	s_waitcnt lgkmcnt(0)
	s_barrier
	ds_read_b128 v[0:3], v236 offset:9360
	ds_read_b128 v[4:7], v236
	ds_read_b128 v[8:11], v236 offset:1872
	ds_read_b128 v[12:15], v236 offset:11232
	;; [unrolled: 1-line block ×8, first 2 shown]
	s_waitcnt lgkmcnt(8)
	v_add_f64 v[92:93], v[4:5], -v[0:1]
	v_add_f64 v[94:95], v[6:7], -v[2:3]
	s_waitcnt lgkmcnt(6)
	v_add_f64 v[100:101], v[8:9], -v[12:13]
	v_add_f64 v[102:103], v[10:11], -v[14:15]
	v_lshlrev_b32_e32 v40, 5, v164
	v_fma_f64 v[88:89], v[4:5], 2.0, -v[92:93]
	v_fma_f64 v[90:91], v[6:7], 2.0, -v[94:95]
	;; [unrolled: 1-line block ×4, first 2 shown]
	s_waitcnt lgkmcnt(4)
	v_add_f64 v[108:109], v[20:21], -v[16:17]
	v_add_f64 v[110:111], v[22:23], -v[18:19]
	v_lshlrev_b32_e32 v0, 5, v172
	v_lshl_add_u64 v[42:43], v[164:165], 0, s[0:1]
	v_fma_f64 v[104:105], v[20:21], 2.0, -v[108:109]
	v_fma_f64 v[106:107], v[22:23], 2.0, -v[110:111]
	s_waitcnt lgkmcnt(0)
	s_barrier
	ds_write_b128 v40, v[88:91]
	ds_write_b128 v40, v[92:95] offset:16
	ds_write_b128 v0, v[96:99]
	v_accvgpr_write_b32 a46, v0
	ds_write_b128 v0, v[100:103] offset:16
	v_lshlrev_b32_e32 v0, 5, v174
	v_accvgpr_write_b32 a4, v52
	v_accvgpr_write_b32 a8, v56
	;; [unrolled: 1-line block ×8, first 2 shown]
	v_add_f64 v[116:117], v[24:25], -v[32:33]
	v_add_f64 v[118:119], v[26:27], -v[34:35]
	;; [unrolled: 1-line block ×4, first 2 shown]
	ds_write_b128 v0, v[104:107]
	v_accvgpr_write_b32 a48, v0
	ds_write_b128 v0, v[108:111] offset:16
	v_accvgpr_write_b32 a83, v43
	v_lshlrev_b32_e32 v0, 5, v42
	s_movk_i32 s0, 0x5a
	v_accvgpr_write_b32 a27, v73
	v_accvgpr_write_b32 a28, v74
	;; [unrolled: 1-line block ×27, first 2 shown]
	v_fma_f64 v[112:113], v[24:25], 2.0, -v[116:117]
	v_fma_f64 v[114:115], v[26:27], 2.0, -v[118:119]
	;; [unrolled: 1-line block ×4, first 2 shown]
	v_accvgpr_write_b32 a82, v42
	v_accvgpr_write_b32 a47, v0
	;; [unrolled: 1-line block ×3, first 2 shown]
	v_cmp_gt_u16_e64 s[0:1], s0, v164
	ds_write_b128 v0, v[112:115]
	ds_write_b128 v0, v[116:119] offset:16
	ds_write_b128 v40, v[120:123] offset:14976
	;; [unrolled: 1-line block ×3, first 2 shown]
	s_waitcnt lgkmcnt(0)
	s_barrier
	s_and_saveexec_b64 s[2:3], s[0:1]
	s_cbranch_execz .LBB0_3
; %bb.2:
	ds_read_b128 v[88:91], v236
	ds_read_b128 v[92:95], v236 offset:1440
	ds_read_b128 v[96:99], v236 offset:2880
	;; [unrolled: 1-line block ×12, first 2 shown]
.LBB0_3:
	s_or_b64 exec, exec, s[2:3]
	v_and_b32_e32 v0, 1, v164
	v_accvgpr_write_b32 a39, v0
	v_mul_u32_u24_e32 v0, 12, v0
	v_lshlrev_b32_e32 v0, 4, v0
	global_load_dwordx4 v[52:55], v0, s[10:11]
	global_load_dwordx4 v[48:51], v0, s[10:11] offset:16
	global_load_dwordx4 v[44:47], v0, s[10:11] offset:32
	;; [unrolled: 1-line block ×11, first 2 shown]
	s_mov_b32 s18, 0x4267c47c
	s_mov_b32 s19, 0xbfddbe06
	;; [unrolled: 1-line block ×36, first 2 shown]
	s_waitcnt lgkmcnt(0)
	s_barrier
	s_waitcnt vmcnt(11)
	v_mul_f64 v[0:1], v[94:95], v[54:55]
	v_mul_f64 v[140:141], v[92:93], v[54:55]
	s_waitcnt vmcnt(10)
	v_mul_f64 v[2:3], v[98:99], v[50:51]
	v_mul_f64 v[142:143], v[96:97], v[50:51]
	s_waitcnt vmcnt(9)
	v_mul_f64 v[144:145], v[100:101], v[46:47]
	s_waitcnt vmcnt(8)
	;; [unrolled: 2-line block ×3, first 2 shown]
	v_mul_f64 v[152:153], v[116:117], v[62:63]
	v_mul_f64 v[8:9], v[110:111], v[70:71]
	;; [unrolled: 1-line block ×3, first 2 shown]
	v_fma_f64 v[188:189], v[92:93], v[52:53], -v[0:1]
	s_waitcnt vmcnt(1)
	v_mul_f64 v[20:21], v[134:135], v[78:79]
	s_waitcnt vmcnt(0)
	v_mul_f64 v[22:23], v[138:139], v[74:75]
	v_mul_f64 v[160:161], v[132:133], v[78:79]
	;; [unrolled: 1-line block ×3, first 2 shown]
	v_fmac_f64_e32 v[152:153], v[118:119], v[60:61]
	v_fma_f64 v[118:119], v[136:137], v[72:73], -v[22:23]
	v_mul_f64 v[4:5], v[102:103], v[46:47]
	v_mul_f64 v[146:147], v[104:105], v[42:43]
	;; [unrolled: 1-line block ×3, first 2 shown]
	v_fmac_f64_e32 v[140:141], v[94:95], v[52:53]
	v_fma_f64 v[194:195], v[96:97], v[48:49], -v[2:3]
	v_fmac_f64_e32 v[142:143], v[98:99], v[48:49]
	v_fmac_f64_e32 v[144:145], v[102:103], v[44:45]
	v_fma_f64 v[102:103], v[104:105], v[40:41], -v[6:7]
	v_fma_f64 v[104:105], v[108:109], v[68:69], -v[8:9]
	;; [unrolled: 1-line block ×4, first 2 shown]
	v_fmac_f64_e32 v[160:161], v[134:135], v[76:77]
	v_fmac_f64_e32 v[168:169], v[138:139], v[72:73]
	v_add_f64 v[190:191], v[188:189], -v[118:119]
	v_fma_f64 v[24:25], v[100:101], v[44:45], -v[4:5]
	v_add_f64 v[100:101], v[140:141], -v[168:169]
	v_add_f64 v[220:221], v[142:143], -v[160:161]
	;; [unrolled: 1-line block ×3, first 2 shown]
	v_mul_f64 v[4:5], v[190:191], s[18:19]
	v_mul_f64 v[158:159], v[128:129], v[82:83]
	v_add_f64 v[184:185], v[188:189], v[118:119]
	v_add_f64 v[192:193], v[140:141], v[168:169]
	v_mul_f64 v[132:133], v[100:101], s[18:19]
	v_mul_f64 v[2:3], v[220:221], s[16:17]
	;; [unrolled: 1-line block ×3, first 2 shown]
	v_accvgpr_write_b32 a61, v5
	v_mul_f64 v[150:151], v[112:113], v[66:67]
	v_mul_f64 v[18:19], v[130:131], v[82:83]
	v_fmac_f64_e32 v[158:159], v[130:131], v[80:81]
	v_add_f64 v[196:197], v[194:195], v[116:117]
	v_add_f64 v[200:201], v[142:143], v[160:161]
	v_fma_f64 v[0:1], s[2:3], v[184:185], v[132:133]
	v_accvgpr_write_b32 a59, v3
	v_accvgpr_write_b32 a60, v4
	v_fma_f64 v[4:5], v[192:193], s[2:3], -v[4:5]
	v_accvgpr_write_b32 a63, v7
	v_mul_f64 v[10:11], v[114:115], v[66:67]
	v_fmac_f64_e32 v[150:151], v[114:115], v[64:65]
	v_fma_f64 v[114:115], v[128:129], v[80:81], -v[18:19]
	v_accvgpr_write_b32 a58, v2
	v_fma_f64 v[2:3], s[14:15], v[196:197], v[2:3]
	v_accvgpr_write_b32 a62, v6
	v_fma_f64 v[6:7], v[200:201], s[14:15], -v[6:7]
	v_add_f64 v[0:1], v[88:89], v[0:1]
	v_add_f64 v[4:5], v[90:91], v[4:5]
	v_add_f64 v[18:19], v[144:145], -v[158:159]
	v_add_f64 v[0:1], v[2:3], v[0:1]
	v_add_f64 v[2:3], v[6:7], v[4:5]
	v_mul_f64 v[4:5], v[18:19], s[30:31]
	v_add_f64 v[208:209], v[24:25], v[114:115]
	v_accvgpr_write_b32 a65, v5
	v_accvgpr_write_b32 a64, v4
	v_fma_f64 v[4:5], s[20:21], v[208:209], v[4:5]
	v_add_f64 v[0:1], v[4:5], v[0:1]
	v_add_f64 v[4:5], v[24:25], -v[114:115]
	v_mul_f64 v[156:157], v[124:125], v[86:87]
	v_mul_f64 v[6:7], v[4:5], s[30:31]
	v_fmac_f64_e32 v[146:147], v[106:107], v[40:41]
	v_fmac_f64_e32 v[156:157], v[126:127], v[84:85]
	v_add_f64 v[214:215], v[144:145], v[158:159]
	v_accvgpr_write_b32 a67, v7
	v_mul_f64 v[16:17], v[126:127], v[86:87]
	v_accvgpr_write_b32 a66, v6
	v_fma_f64 v[6:7], v[214:215], s[20:21], -v[6:7]
	v_add_f64 v[34:35], v[146:147], -v[156:157]
	v_fma_f64 v[106:107], v[112:113], v[64:65], -v[10:11]
	v_fma_f64 v[112:113], v[124:125], v[84:85], -v[16:17]
	v_add_f64 v[2:3], v[6:7], v[2:3]
	v_mul_f64 v[6:7], v[34:35], s[34:35]
	v_add_f64 v[218:219], v[102:103], v[112:113]
	v_accvgpr_write_b32 a69, v7
	v_accvgpr_write_b32 a68, v6
	v_fma_f64 v[6:7], s[26:27], v[218:219], v[6:7]
	v_add_f64 v[26:27], v[102:103], -v[112:113]
	v_mul_f64 v[154:155], v[120:121], v[58:59]
	v_add_f64 v[0:1], v[6:7], v[0:1]
	v_mul_f64 v[6:7], v[26:27], s[34:35]
	v_fmac_f64_e32 v[148:149], v[110:111], v[68:69]
	v_fmac_f64_e32 v[154:155], v[122:123], v[56:57]
	v_add_f64 v[222:223], v[146:147], v[156:157]
	v_accvgpr_write_b32 a71, v7
	v_mul_f64 v[14:15], v[122:123], v[58:59]
	v_accvgpr_write_b32 a70, v6
	v_fma_f64 v[6:7], v[222:223], s[26:27], -v[6:7]
	v_add_f64 v[170:171], v[148:149], -v[154:155]
	v_fma_f64 v[110:111], v[120:121], v[56:57], -v[14:15]
	v_add_f64 v[2:3], v[6:7], v[2:3]
	v_mul_f64 v[6:7], v[170:171], s[36:37]
	v_add_f64 v[228:229], v[104:105], v[110:111]
	v_accvgpr_write_b32 a73, v7
	v_add_f64 v[238:239], v[104:105], -v[110:111]
	v_accvgpr_write_b32 a72, v6
	v_fma_f64 v[6:7], s[24:25], v[228:229], v[6:7]
	v_add_f64 v[234:235], v[148:149], v[154:155]
	v_mul_f64 v[198:199], v[238:239], s[36:37]
	v_add_f64 v[162:163], v[150:151], -v[152:153]
	v_add_f64 v[0:1], v[6:7], v[0:1]
	v_fma_f64 v[6:7], v[234:235], s[24:25], -v[198:199]
	v_add_f64 v[252:253], v[106:107], v[108:109]
	v_mul_f64 v[202:203], v[162:163], s[40:41]
	v_add_f64 v[2:3], v[6:7], v[2:3]
	v_fma_f64 v[6:7], s[28:29], v[252:253], v[202:203]
	v_add_f64 v[180:181], v[106:107], -v[108:109]
	v_add_f64 v[136:137], v[6:7], v[0:1]
	v_add_f64 v[0:1], v[150:151], v[152:153]
	v_mul_f64 v[206:207], v[180:181], s[40:41]
	v_fma_f64 v[6:7], v[0:1], s[28:29], -v[206:207]
	v_mul_f64 v[210:211], v[100:101], s[16:17]
	v_add_f64 v[138:139], v[6:7], v[2:3]
	v_fma_f64 v[2:3], s[14:15], v[184:185], v[210:211]
	v_mul_f64 v[216:217], v[220:221], s[34:35]
	v_add_f64 v[2:3], v[88:89], v[2:3]
	v_fma_f64 v[6:7], s[26:27], v[196:197], v[216:217]
	v_mul_f64 v[226:227], v[190:191], s[16:17]
	v_add_f64 v[2:3], v[6:7], v[2:3]
	v_fma_f64 v[6:7], v[192:193], s[14:15], -v[226:227]
	v_mul_f64 v[232:233], v[204:205], s[34:35]
	v_add_f64 v[6:7], v[90:91], v[6:7]
	v_fma_f64 v[8:9], v[200:201], s[26:27], -v[232:233]
	v_mul_f64 v[224:225], v[18:19], s[40:41]
	v_add_f64 v[6:7], v[8:9], v[6:7]
	v_fma_f64 v[8:9], s[28:29], v[208:209], v[224:225]
	v_mul_f64 v[246:247], v[4:5], s[40:41]
	v_add_f64 v[2:3], v[8:9], v[2:3]
	v_fma_f64 v[8:9], v[214:215], s[28:29], -v[246:247]
	v_mul_f64 v[230:231], v[34:35], s[38:39]
	v_add_f64 v[6:7], v[8:9], v[6:7]
	v_fma_f64 v[8:9], s[24:25], v[218:219], v[230:231]
	;; [unrolled: 6-line block ×4, first 2 shown]
	v_add_f64 v[124:125], v[8:9], v[2:3]
	v_mul_f64 v[2:3], v[180:181], s[44:45]
	v_fma_f64 v[8:9], v[0:1], s[2:3], -v[2:3]
	v_add_f64 v[126:127], v[8:9], v[6:7]
	v_mul_f64 v[6:7], v[100:101], s[30:31]
	v_fma_f64 v[8:9], s[20:21], v[184:185], v[6:7]
	v_add_f64 v[10:11], v[88:89], v[8:9]
	v_mul_f64 v[8:9], v[220:221], s[40:41]
	v_fma_f64 v[12:13], s[28:29], v[196:197], v[8:9]
	v_add_f64 v[14:15], v[12:13], v[10:11]
	v_mul_f64 v[12:13], v[190:191], s[30:31]
	v_fma_f64 v[10:11], v[192:193], s[20:21], -v[12:13]
	v_mul_f64 v[16:17], v[204:205], s[40:41]
	v_add_f64 v[10:11], v[90:91], v[10:11]
	v_fma_f64 v[20:21], v[200:201], s[28:29], -v[16:17]
	v_add_f64 v[20:21], v[20:21], v[10:11]
	v_mul_f64 v[10:11], v[18:19], s[48:49]
	v_accvgpr_write_b32 a57, v25
	v_fma_f64 v[22:23], s[26:27], v[208:209], v[10:11]
	v_accvgpr_write_b32 a56, v24
	v_add_f64 v[24:25], v[22:23], v[14:15]
	v_mul_f64 v[22:23], v[4:5], s[48:49]
	v_fma_f64 v[14:15], v[214:215], s[26:27], -v[22:23]
	v_add_f64 v[20:21], v[14:15], v[20:21]
	v_mul_f64 v[14:15], v[34:35], s[44:45]
	v_fma_f64 v[28:29], s[2:3], v[218:219], v[14:15]
	v_add_f64 v[24:25], v[28:29], v[24:25]
	v_mul_f64 v[28:29], v[26:27], s[44:45]
	v_fma_f64 v[30:31], v[222:223], s[2:3], -v[28:29]
	v_add_f64 v[32:33], v[30:31], v[20:21]
	v_mul_f64 v[20:21], v[170:171], s[16:17]
	v_fma_f64 v[30:31], s[14:15], v[228:229], v[20:21]
	;; [unrolled: 6-line block ×4, first 2 shown]
	v_add_f64 v[92:93], v[88:89], v[38:39]
	v_mul_f64 v[38:39], v[220:221], s[38:39]
	v_fma_f64 v[94:95], s[24:25], v[196:197], v[38:39]
	v_mul_f64 v[178:179], v[190:191], s[34:35]
	v_add_f64 v[92:93], v[94:95], v[92:93]
	v_fma_f64 v[94:95], v[192:193], s[26:27], -v[178:179]
	v_mul_f64 v[182:183], v[204:205], s[38:39]
	v_add_f64 v[94:95], v[90:91], v[94:95]
	v_fma_f64 v[96:97], v[200:201], s[24:25], -v[182:183]
	v_mul_f64 v[240:241], v[18:19], s[44:45]
	v_add_f64 v[94:95], v[96:97], v[94:95]
	v_fma_f64 v[96:97], s[2:3], v[208:209], v[240:241]
	v_mul_f64 v[242:243], v[4:5], s[44:45]
	v_add_f64 v[92:93], v[96:97], v[92:93]
	v_fma_f64 v[96:97], v[214:215], s[2:3], -v[242:243]
	v_mul_f64 v[134:135], v[34:35], s[30:31]
	v_add_f64 v[94:95], v[96:97], v[94:95]
	v_fma_f64 v[96:97], s[20:21], v[218:219], v[134:135]
	v_mul_f64 v[186:187], v[26:27], s[30:31]
	v_add_f64 v[92:93], v[96:97], v[92:93]
	v_fma_f64 v[96:97], v[222:223], s[20:21], -v[186:187]
	v_mul_f64 v[176:177], v[170:171], s[46:47]
	v_mov_b64_e32 v[98:99], v[164:165]
	v_add_f64 v[94:95], v[96:97], v[94:95]
	v_fma_f64 v[96:97], s[28:29], v[228:229], v[176:177]
	v_mul_f64 v[164:165], v[238:239], s[46:47]
	v_add_f64 v[92:93], v[96:97], v[92:93]
	v_fma_f64 v[96:97], v[234:235], s[28:29], -v[164:165]
	v_mul_f64 v[212:213], v[162:163], s[50:51]
	v_add_f64 v[94:95], v[96:97], v[94:95]
	v_fma_f64 v[96:97], s[14:15], v[252:253], v[212:213]
	v_mul_f64 v[166:167], v[180:181], s[50:51]
	v_add_f64 v[120:121], v[96:97], v[92:93]
	v_fma_f64 v[92:93], v[0:1], s[14:15], -v[166:167]
	v_add_f64 v[122:123], v[92:93], v[94:95]
	v_accvgpr_write_b32 a12, v98
	v_lshrrev_b32_e32 v92, 1, v98
	v_accvgpr_write_b32 a13, v99
	v_accvgpr_write_b32 a45, v92
	s_and_saveexec_b64 s[22:23], s[0:1]
	s_cbranch_execz .LBB0_5
; %bb.4:
	v_accvgpr_write_b32 a86, v112
	v_accvgpr_write_b32 a84, v110
	;; [unrolled: 1-line block ×3, first 2 shown]
	v_mul_f64 v[112:113], v[192:193], s[28:29]
	v_accvgpr_write_b32 a88, v114
	v_accvgpr_write_b32 a78, v106
	;; [unrolled: 1-line block ×3, first 2 shown]
	v_mul_f64 v[110:111], v[200:201], s[2:3]
	v_accvgpr_write_b32 a90, v188
	v_accvgpr_write_b32 a89, v115
	v_fma_f64 v[114:115], s[46:47], v[190:191], v[112:113]
	v_accvgpr_write_b32 a74, v102
	v_accvgpr_write_b32 a79, v107
	v_mul_f64 v[106:107], v[214:215], s[24:25]
	v_accvgpr_write_b32 a80, v108
	v_accvgpr_write_b32 a91, v189
	v_fma_f64 v[188:189], s[18:19], v[204:205], v[110:111]
	v_add_f64 v[114:115], v[90:91], v[114:115]
	v_accvgpr_write_b32 a75, v103
	v_mul_f64 v[102:103], v[222:223], s[14:15]
	v_accvgpr_write_b32 a76, v104
	v_accvgpr_write_b32 a81, v109
	v_fma_f64 v[108:109], s[38:39], v[4:5], v[106:107]
	v_add_f64 v[114:115], v[188:189], v[114:115]
	v_mul_f64 v[98:99], v[234:235], s[26:27]
	v_accvgpr_write_b32 a77, v105
	v_fma_f64 v[104:105], s[16:17], v[26:27], v[102:103]
	v_add_f64 v[108:109], v[108:109], v[114:115]
	v_accvgpr_write_b32 a92, v116
	v_mul_f64 v[96:97], v[0:1], s[20:21]
	v_fma_f64 v[94:95], s[48:49], v[238:239], v[98:99]
	v_add_f64 v[104:105], v[104:105], v[108:109]
	v_accvgpr_write_b32 a93, v117
	v_mul_f64 v[116:117], v[100:101], s[40:41]
	v_accvgpr_write_b32 a94, v118
	v_fma_f64 v[92:93], s[30:31], v[180:181], v[96:97]
	v_add_f64 v[94:95], v[94:95], v[104:105]
	v_mul_f64 v[188:189], v[220:221], s[44:45]
	v_accvgpr_write_b32 a95, v119
	v_fma_f64 v[118:119], s[28:29], v[184:185], v[116:117]
	v_add_f64 v[94:95], v[92:93], v[94:95]
	v_mul_f64 v[114:115], v[18:19], s[36:37]
	v_fma_f64 v[92:93], s[2:3], v[196:197], v[188:189]
	v_add_f64 v[118:119], v[88:89], v[118:119]
	v_mul_f64 v[108:109], v[34:35], s[50:51]
	v_add_f64 v[92:93], v[92:93], v[118:119]
	v_fma_f64 v[118:119], s[24:25], v[208:209], v[114:115]
	v_fmac_f64_e32 v[112:113], s[40:41], v[190:191]
	v_mul_f64 v[104:105], v[170:171], s[34:35]
	v_add_f64 v[92:93], v[118:119], v[92:93]
	v_fma_f64 v[118:119], s[14:15], v[218:219], v[108:109]
	v_fmac_f64_e32 v[110:111], s[44:45], v[204:205]
	v_add_f64 v[112:113], v[90:91], v[112:113]
	v_add_f64 v[92:93], v[118:119], v[92:93]
	v_fma_f64 v[118:119], s[26:27], v[228:229], v[104:105]
	v_fmac_f64_e32 v[106:107], s[36:37], v[4:5]
	v_add_f64 v[110:111], v[110:111], v[112:113]
	v_add_f64 v[92:93], v[118:119], v[92:93]
	v_mul_f64 v[118:119], v[162:163], s[42:43]
	v_accvgpr_write_b32 a96, v132
	v_fmac_f64_e32 v[102:103], s[50:51], v[26:27]
	v_add_f64 v[106:107], v[106:107], v[110:111]
	v_accvgpr_write_b32 a97, v133
	v_fma_f64 v[132:133], s[20:21], v[252:253], v[118:119]
	v_fmac_f64_e32 v[98:99], s[34:35], v[238:239]
	v_add_f64 v[102:103], v[102:103], v[106:107]
	v_add_f64 v[92:93], v[132:133], v[92:93]
	v_mul_f64 v[132:133], v[184:185], s[2:3]
	v_fmac_f64_e32 v[96:97], s[42:43], v[180:181]
	v_add_f64 v[98:99], v[98:99], v[102:103]
	v_accvgpr_write_b32 a98, v132
	v_add_f64 v[98:99], v[96:97], v[98:99]
	v_fma_f64 v[96:97], v[252:253], s[20:21], -v[118:119]
	v_fma_f64 v[110:111], v[184:185], s[28:29], -v[116:117]
	v_mul_f64 v[118:119], v[192:193], s[24:25]
	v_accvgpr_write_b32 a99, v133
	v_fma_f64 v[102:103], v[228:229], s[26:27], -v[104:105]
	v_fma_f64 v[104:105], v[218:219], s[14:15], -v[108:109]
	;; [unrolled: 1-line block ×4, first 2 shown]
	v_add_f64 v[110:111], v[88:89], v[110:111]
	v_mul_f64 v[114:115], v[200:201], s[20:21]
	v_fma_f64 v[132:133], s[38:39], v[190:191], v[118:119]
	v_add_f64 v[108:109], v[108:109], v[110:111]
	v_mul_f64 v[112:113], v[214:215], s[14:15]
	v_fma_f64 v[116:117], s[30:31], v[204:205], v[114:115]
	v_add_f64 v[132:133], v[90:91], v[132:133]
	v_add_f64 v[106:107], v[106:107], v[108:109]
	v_mul_f64 v[110:111], v[222:223], s[28:29]
	v_add_f64 v[116:117], v[116:117], v[132:133]
	v_fma_f64 v[132:133], s[50:51], v[4:5], v[112:113]
	v_add_f64 v[104:105], v[104:105], v[106:107]
	v_mul_f64 v[106:107], v[234:235], s[2:3]
	v_add_f64 v[116:117], v[132:133], v[116:117]
	v_fma_f64 v[132:133], s[40:41], v[26:27], v[110:111]
	v_fma_f64 v[108:109], s[18:19], v[238:239], v[106:107]
	v_add_f64 v[116:117], v[132:133], v[116:117]
	v_add_f64 v[102:103], v[102:103], v[104:105]
	v_mul_f64 v[104:105], v[0:1], s[26:27]
	v_add_f64 v[108:109], v[108:109], v[116:117]
	v_mul_f64 v[116:117], v[170:171], s[44:45]
	v_mul_f64 v[170:171], v[100:101], s[36:37]
	v_add_f64 v[96:97], v[96:97], v[102:103]
	v_fma_f64 v[102:103], s[48:49], v[180:181], v[104:105]
	v_mul_f64 v[132:133], v[220:221], s[42:43]
	v_fma_f64 v[100:101], s[24:25], v[184:185], v[170:171]
	v_fmac_f64_e32 v[118:119], s[36:37], v[190:191]
	v_add_f64 v[102:103], v[102:103], v[108:109]
	v_mul_f64 v[108:109], v[162:163], s[34:35]
	v_mul_f64 v[18:19], v[18:19], s[16:17]
	v_fma_f64 v[162:163], s[20:21], v[196:197], v[132:133]
	v_add_f64 v[100:101], v[88:89], v[100:101]
	v_fmac_f64_e32 v[114:115], s[42:43], v[204:205]
	v_add_f64 v[118:119], v[90:91], v[118:119]
	v_fma_f64 v[170:171], v[184:185], s[24:25], -v[170:171]
	v_mul_f64 v[34:35], v[34:35], s[46:47]
	v_add_f64 v[100:101], v[162:163], v[100:101]
	v_fma_f64 v[162:163], s[14:15], v[208:209], v[18:19]
	v_fmac_f64_e32 v[112:113], s[16:17], v[4:5]
	v_add_f64 v[114:115], v[114:115], v[118:119]
	v_fma_f64 v[132:133], v[196:197], s[20:21], -v[132:133]
	v_add_f64 v[170:171], v[88:89], v[170:171]
	v_add_f64 v[100:101], v[162:163], v[100:101]
	v_fma_f64 v[162:163], s[28:29], v[218:219], v[34:35]
	v_fmac_f64_e32 v[110:111], s[46:47], v[26:27]
	v_add_f64 v[112:113], v[112:113], v[114:115]
	v_add_f64 v[132:133], v[132:133], v[170:171]
	v_fma_f64 v[18:19], v[208:209], s[14:15], -v[18:19]
	v_add_f64 v[100:101], v[162:163], v[100:101]
	v_fma_f64 v[162:163], s[2:3], v[228:229], v[116:117]
	v_fmac_f64_e32 v[106:107], s[44:45], v[238:239]
	v_mul_f64 v[238:239], v[192:193], s[26:27]
	v_add_f64 v[110:111], v[110:111], v[112:113]
	v_add_f64 v[18:19], v[18:19], v[132:133]
	v_fma_f64 v[34:35], v[218:219], s[28:29], -v[34:35]
	v_add_f64 v[100:101], v[162:163], v[100:101]
	v_fma_f64 v[162:163], s[26:27], v[252:253], v[108:109]
	v_fmac_f64_e32 v[104:105], s[34:35], v[180:181]
	v_accvgpr_write_b32 a50, v174
	v_mul_f64 v[174:175], v[200:201], s[14:15]
	v_mul_f64 v[114:115], v[200:201], s[26:27]
	v_add_f64 v[106:107], v[106:107], v[110:111]
	v_mul_f64 v[110:111], v[200:201], s[28:29]
	v_mul_f64 v[200:201], v[200:201], s[24:25]
	v_add_f64 v[18:19], v[34:35], v[18:19]
	v_fma_f64 v[34:35], v[228:229], s[2:3], -v[116:117]
	v_add_f64 v[178:179], v[178:179], v[238:239]
	v_add_f64 v[100:101], v[162:163], v[100:101]
	v_mul_f64 v[162:163], v[192:193], s[2:3]
	v_mul_f64 v[180:181], v[192:193], s[14:15]
	;; [unrolled: 1-line block ×3, first 2 shown]
	v_add_f64 v[18:19], v[34:35], v[18:19]
	v_add_f64 v[192:193], v[104:105], v[106:107]
	v_fma_f64 v[34:35], v[252:253], s[26:27], -v[108:109]
	v_mul_f64 v[104:105], v[214:215], s[2:3]
	v_mul_f64 v[108:109], v[234:235], s[28:29]
	v_add_f64 v[182:183], v[182:183], v[200:201]
	v_add_f64 v[178:179], v[90:91], v[178:179]
	v_mul_f64 v[4:5], v[184:185], s[26:27]
	v_add_f64 v[108:109], v[164:165], v[108:109]
	v_mul_f64 v[164:165], v[222:223], s[20:21]
	v_add_f64 v[104:105], v[242:243], v[104:105]
	v_add_f64 v[178:179], v[182:183], v[178:179]
	v_mul_f64 v[204:205], v[196:197], s[14:15]
	v_mul_f64 v[118:119], v[196:197], s[26:27]
	;; [unrolled: 1-line block ×4, first 2 shown]
	v_add_f64 v[164:165], v[186:187], v[164:165]
	v_add_f64 v[104:105], v[104:105], v[178:179]
	v_add_f64 v[4:5], v[4:5], -v[36:37]
	v_add_f64 v[190:191], v[34:35], v[18:19]
	v_mul_f64 v[34:35], v[208:209], s[2:3]
	v_mul_f64 v[106:107], v[0:1], s[14:15]
	v_add_f64 v[104:105], v[164:165], v[104:105]
	v_add_f64 v[38:39], v[196:197], -v[38:39]
	v_add_f64 v[4:5], v[88:89], v[4:5]
	v_mul_f64 v[220:221], v[184:185], s[20:21]
	v_add_f64 v[106:107], v[166:167], v[106:107]
	v_mul_f64 v[166:167], v[218:219], s[26:27]
	v_mul_f64 v[200:201], v[218:219], s[24:25]
	;; [unrolled: 1-line block ×4, first 2 shown]
	v_add_f64 v[104:105], v[108:109], v[104:105]
	v_mul_f64 v[108:109], v[252:253], s[14:15]
	v_add_f64 v[34:35], v[34:35], -v[240:241]
	v_add_f64 v[4:5], v[38:39], v[4:5]
	v_add_f64 v[12:13], v[12:13], v[26:27]
	v_accvgpr_write_b32 a55, v43
	v_mul_f64 v[18:19], v[214:215], s[26:27]
	v_add_f64 v[108:109], v[108:109], -v[212:213]
	v_mul_f64 v[212:213], v[228:229], s[28:29]
	v_add_f64 v[134:135], v[218:219], -v[134:135]
	v_add_f64 v[4:5], v[34:35], v[4:5]
	v_add_f64 v[16:17], v[16:17], v[110:111]
	v_add_f64 v[12:13], v[90:91], v[12:13]
	v_add_f64 v[6:7], v[220:221], -v[6:7]
	v_mul_f64 v[170:171], v[214:215], s[20:21]
	v_accvgpr_write_b32 a54, v42
	v_accvgpr_write_b32 a53, v41
	;; [unrolled: 1-line block ×3, first 2 shown]
	v_mov_b64_e32 v[40:41], v[194:195]
	v_mul_f64 v[194:195], v[214:215], s[28:29]
	v_mul_f64 v[116:117], v[208:209], s[26:27]
	;; [unrolled: 1-line block ×3, first 2 shown]
	v_add_f64 v[176:177], v[212:213], -v[176:177]
	v_add_f64 v[4:5], v[134:135], v[4:5]
	v_add_f64 v[18:19], v[22:23], v[18:19]
	;; [unrolled: 1-line block ×3, first 2 shown]
	v_add_f64 v[8:9], v[112:113], -v[8:9]
	v_add_f64 v[6:7], v[88:89], v[6:7]
	v_mul_f64 v[188:189], v[184:185], s[14:15]
	v_mul_f64 v[184:185], v[208:209], s[20:21]
	;; [unrolled: 1-line block ×9, first 2 shown]
	v_add_f64 v[4:5], v[176:177], v[4:5]
	v_add_f64 v[28:29], v[28:29], v[214:215]
	;; [unrolled: 1-line block ×3, first 2 shown]
	v_add_f64 v[10:11], v[116:117], -v[10:11]
	v_add_f64 v[6:7], v[8:9], v[6:7]
	v_mul_f64 v[196:197], v[0:1], s[28:29]
	v_mul_f64 v[38:39], v[0:1], s[2:3]
	;; [unrolled: 1-line block ×3, first 2 shown]
	v_add_f64 v[34:35], v[108:109], v[4:5]
	v_add_f64 v[4:5], v[30:31], v[228:229]
	;; [unrolled: 1-line block ×3, first 2 shown]
	v_add_f64 v[14:15], v[182:183], -v[14:15]
	v_add_f64 v[6:7], v[10:11], v[6:7]
	v_add_f64 v[0:1], v[32:33], v[0:1]
	;; [unrolled: 1-line block ×5, first 2 shown]
	v_mul_f64 v[240:241], v[252:253], s[24:25]
	v_add_f64 v[12:13], v[0:1], v[4:5]
	v_add_f64 v[4:5], v[222:223], -v[20:21]
	v_add_f64 v[8:9], v[232:233], v[114:115]
	v_add_f64 v[14:15], v[90:91], v[14:15]
	v_add_f64 v[16:17], v[188:189], -v[210:211]
	v_add_f64 v[0:1], v[240:241], -v[24:25]
	v_add_f64 v[4:5], v[4:5], v[6:7]
	v_add_f64 v[6:7], v[246:247], v[194:195]
	;; [unrolled: 1-line block ×3, first 2 shown]
	v_add_f64 v[14:15], v[118:119], -v[216:217]
	v_add_f64 v[16:17], v[88:89], v[16:17]
	v_accvgpr_read_b32 v18, a60
	v_add_f64 v[10:11], v[0:1], v[4:5]
	v_add_f64 v[4:5], v[248:249], v[208:209]
	;; [unrolled: 1-line block ×3, first 2 shown]
	v_add_f64 v[8:9], v[132:133], -v[224:225]
	v_add_f64 v[14:15], v[14:15], v[16:17]
	v_accvgpr_read_b32 v16, a62
	v_accvgpr_read_b32 v19, a61
	v_add_f64 v[4:5], v[4:5], v[6:7]
	v_add_f64 v[6:7], v[200:201], -v[230:231]
	v_add_f64 v[8:9], v[8:9], v[14:15]
	v_accvgpr_read_b32 v14, a66
	v_accvgpr_read_b32 v17, a63
	v_add_f64 v[18:19], v[18:19], v[162:163]
	v_mul_f64 v[218:219], v[234:235], s[20:21]
	v_add_f64 v[6:7], v[6:7], v[8:9]
	v_accvgpr_read_b32 v8, a70
	v_accvgpr_read_b32 v15, a67
	v_add_f64 v[16:17], v[16:17], v[174:175]
	v_add_f64 v[18:19], v[90:91], v[18:19]
	v_accvgpr_read_b32 v20, a96
	v_accvgpr_read_b32 v22, a98
	v_add_f64 v[0:1], v[2:3], v[38:39]
	v_add_f64 v[2:3], v[254:255], v[218:219]
	v_accvgpr_read_b32 v9, a71
	v_add_f64 v[14:15], v[14:15], v[170:171]
	v_add_f64 v[16:17], v[16:17], v[18:19]
	v_accvgpr_read_b32 v18, a58
	v_accvgpr_read_b32 v21, a97
	;; [unrolled: 1-line block ×3, first 2 shown]
	v_mul_f64 v[164:165], v[234:235], s[24:25]
	v_add_f64 v[2:3], v[2:3], v[4:5]
	v_add_f64 v[4:5], v[212:213], -v[244:245]
	v_add_f64 v[8:9], v[8:9], v[186:187]
	v_add_f64 v[14:15], v[14:15], v[16:17]
	v_accvgpr_read_b32 v16, a64
	v_accvgpr_read_b32 v19, a59
	v_add_f64 v[20:21], v[22:23], -v[20:21]
	v_add_f64 v[4:5], v[4:5], v[6:7]
	v_add_f64 v[6:7], v[198:199], v[164:165]
	;; [unrolled: 1-line block ×3, first 2 shown]
	v_accvgpr_read_b32 v14, a68
	v_accvgpr_read_b32 v17, a65
	v_add_f64 v[18:19], v[204:205], -v[18:19]
	v_add_f64 v[20:21], v[88:89], v[20:21]
	v_mul_f64 v[238:239], v[252:253], s[2:3]
	v_add_f64 v[6:7], v[6:7], v[8:9]
	v_accvgpr_read_b32 v8, a72
	v_accvgpr_read_b32 v15, a69
	v_add_f64 v[16:17], v[184:185], -v[16:17]
	v_add_f64 v[18:19], v[18:19], v[20:21]
	v_add_f64 v[2:3], v[0:1], v[2:3]
	v_add_f64 v[0:1], v[238:239], -v[250:251]
	v_accvgpr_read_b32 v9, a73
	v_add_f64 v[14:15], v[166:167], -v[14:15]
	v_add_f64 v[16:17], v[16:17], v[18:19]
	v_mul_f64 v[234:235], v[252:253], s[28:29]
	v_add_f64 v[0:1], v[0:1], v[4:5]
	v_add_f64 v[4:5], v[206:207], v[196:197]
	v_add_f64 v[8:9], v[178:179], -v[8:9]
	v_add_f64 v[14:15], v[14:15], v[16:17]
	v_add_f64 v[6:7], v[4:5], v[6:7]
	v_add_f64 v[4:5], v[234:235], -v[202:203]
	v_add_f64 v[8:9], v[8:9], v[14:15]
	v_add_f64 v[4:5], v[4:5], v[8:9]
	;; [unrolled: 1-line block ×14, first 2 shown]
	v_accvgpr_read_b32 v8, a90
	v_accvgpr_read_b32 v9, a91
	v_add_f64 v[8:9], v[88:89], v[8:9]
	v_accvgpr_read_b32 v14, a56
	v_add_f64 v[8:9], v[8:9], v[40:41]
	;; [unrolled: 2-line block ×3, first 2 shown]
	v_accvgpr_read_b32 v14, a74
	v_accvgpr_read_b32 v15, a75
	v_add_f64 v[8:9], v[8:9], v[14:15]
	v_accvgpr_read_b32 v14, a76
	v_accvgpr_read_b32 v15, a77
	v_add_f64 v[8:9], v[8:9], v[14:15]
	v_accvgpr_read_b32 v14, a78
	v_accvgpr_read_b32 v15, a79
	v_add_f64 v[8:9], v[8:9], v[14:15]
	v_accvgpr_read_b32 v14, a80
	v_accvgpr_read_b32 v15, a81
	v_add_f64 v[8:9], v[8:9], v[14:15]
	v_accvgpr_read_b32 v14, a84
	v_accvgpr_read_b32 v15, a85
	v_add_f64 v[8:9], v[8:9], v[14:15]
	v_accvgpr_read_b32 v14, a86
	v_accvgpr_read_b32 v15, a87
	v_add_f64 v[8:9], v[8:9], v[14:15]
	v_accvgpr_read_b32 v14, a88
	v_accvgpr_read_b32 v15, a89
	v_add_f64 v[8:9], v[8:9], v[14:15]
	v_accvgpr_read_b32 v14, a92
	v_accvgpr_read_b32 v15, a93
	v_add_f64 v[8:9], v[8:9], v[14:15]
	v_accvgpr_read_b32 v14, a94
	v_accvgpr_read_b32 v15, a95
	v_add_f64 v[14:15], v[8:9], v[14:15]
	v_accvgpr_read_b32 v8, a45
	v_mul_u32_u24_e32 v8, 26, v8
	v_accvgpr_read_b32 v9, a39
	v_accvgpr_read_b32 v40, a52
	v_or_b32_e32 v8, v8, v9
	v_accvgpr_read_b32 v174, a50
	v_accvgpr_read_b32 v41, a53
	;; [unrolled: 1-line block ×4, first 2 shown]
	v_lshlrev_b32_e32 v8, 4, v8
	v_add_f64 v[36:37], v[106:107], v[104:105]
	ds_write_b128 v8, v[14:17]
	ds_write_b128 v8, v[4:7] offset:32
	ds_write_b128 v8, v[0:3] offset:64
	;; [unrolled: 1-line block ×12, first 2 shown]
.LBB0_5:
	s_or_b64 exec, exec, s[22:23]
	s_waitcnt lgkmcnt(0)
	s_barrier
	ds_read_b128 v[144:147], v236
	ds_read_b128 v[140:143], v236 offset:1872
	ds_read_b128 v[156:159], v236 offset:12480
	;; [unrolled: 1-line block ×8, first 2 shown]
	v_accvgpr_read_b32 v245, a13
	v_accvgpr_read_b32 v244, a12
	v_cmp_gt_u16_e32 vcc, 39, v244
	s_and_saveexec_b64 s[2:3], vcc
	s_cbranch_execz .LBB0_7
; %bb.6:
	ds_read_b128 v[120:123], v236 offset:5616
	ds_read_b128 v[128:131], v236 offset:11856
	;; [unrolled: 1-line block ×3, first 2 shown]
.LBB0_7:
	s_or_b64 exec, exec, s[2:3]
	s_movk_i32 s2, 0x4f
	v_mul_lo_u16_sdwa v0, v244, s2 dst_sel:DWORD dst_unused:UNUSED_PAD src0_sel:BYTE_0 src1_sel:DWORD
	v_lshrrev_b16_e32 v98, 11, v0
	v_mul_lo_u16_e32 v0, 26, v98
	v_sub_u16_e32 v0, v244, v0
	v_and_b32_e32 v99, 0xff, v0
	v_lshlrev_b32_e32 v0, 5, v99
	global_load_dwordx4 v[28:31], v0, s[10:11] offset:400
	global_load_dwordx4 v[20:23], v0, s[10:11] offset:384
	v_mul_lo_u16_sdwa v0, v172, s2 dst_sel:DWORD dst_unused:UNUSED_PAD src0_sel:BYTE_0 src1_sel:DWORD
	v_lshrrev_b16_e32 v100, 11, v0
	v_mul_lo_u16_e32 v0, 26, v100
	v_sub_u16_e32 v0, v172, v0
	v_and_b32_e32 v101, 0xff, v0
	v_lshlrev_b32_e32 v0, 5, v101
	s_movk_i32 s2, 0x4ec5
	global_load_dwordx4 v[36:39], v0, s[10:11] offset:400
	global_load_dwordx4 v[88:91], v0, s[10:11] offset:384
	v_mul_u32_u24_sdwa v0, v174, s2 dst_sel:DWORD dst_unused:UNUSED_PAD src0_sel:WORD_0 src1_sel:DWORD
	v_lshrrev_b32_e32 v102, 19, v0
	v_mul_lo_u16_e32 v0, 26, v102
	v_sub_u16_e32 v103, v174, v0
	v_lshlrev_b16_e32 v0, 5, v103
	v_mov_b32_e32 v1, 0
	v_lshl_add_u64 v[2:3], s[10:11], 0, v[0:1]
	global_load_dwordx4 v[104:107], v[2:3], off offset:384
	global_load_dwordx4 v[92:95], v[2:3], off offset:400
	v_accvgpr_read_b32 v2, a82
	v_mul_u32_u24_sdwa v0, v2, s2 dst_sel:DWORD dst_unused:UNUSED_PAD src0_sel:WORD_0 src1_sel:DWORD
	v_lshrrev_b32_e32 v115, 19, v0
	v_mul_lo_u16_e32 v0, 26, v115
	v_sub_u16_e32 v116, v2, v0
	v_lshlrev_b16_e32 v0, 5, v116
	v_lshl_add_u64 v[0:1], s[10:11], 0, v[0:1]
	global_load_dwordx4 v[174:177], v[0:1], off offset:384
	global_load_dwordx4 v[108:111], v[0:1], off offset:400
	v_accvgpr_read_b32 v3, a83
	s_mov_b32 s2, 0xe8584caa
	s_mov_b32 s3, 0x3febb67a
	;; [unrolled: 1-line block ×4, first 2 shown]
	s_waitcnt lgkmcnt(0)
	s_barrier
	v_lshlrev_b32_e32 v9, 1, v244
	v_lshlrev_b32_e32 v8, 1, v172
	s_waitcnt vmcnt(7)
	v_mul_f64 v[2:3], v[158:159], v[30:31]
	s_waitcnt vmcnt(6)
	v_mul_f64 v[0:1], v[170:171], v[22:23]
	v_mul_f64 v[10:11], v[168:169], v[22:23]
	v_accvgpr_write_b32 a57, v23
	v_fma_f64 v[18:19], v[168:169], v[20:21], -v[0:1]
	v_accvgpr_write_b32 a56, v22
	v_accvgpr_write_b32 a55, v21
	;; [unrolled: 1-line block ×3, first 2 shown]
	s_waitcnt vmcnt(5)
	v_mul_f64 v[26:27], v[148:149], v[38:39]
	s_waitcnt vmcnt(4)
	v_mul_f64 v[24:25], v[164:165], v[90:91]
	v_fmac_f64_e32 v[10:11], v[170:171], v[20:21]
	v_fma_f64 v[20:21], v[156:157], v[28:29], -v[2:3]
	v_accvgpr_write_b32 a61, v39
	v_mul_f64 v[12:13], v[156:157], v[30:31]
	v_mul_f64 v[4:5], v[166:167], v[90:91]
	;; [unrolled: 1-line block ×3, first 2 shown]
	s_waitcnt vmcnt(3)
	v_mul_f64 v[14:15], v[162:163], v[106:107]
	s_waitcnt vmcnt(2)
	v_mul_f64 v[16:17], v[154:155], v[94:95]
	v_accvgpr_write_b32 a53, v31
	v_fmac_f64_e32 v[24:25], v[166:167], v[88:89]
	v_accvgpr_write_b32 a60, v38
	v_accvgpr_write_b32 a59, v37
	;; [unrolled: 1-line block ×3, first 2 shown]
	v_fmac_f64_e32 v[26:27], v[150:151], v[36:37]
	v_fma_f64 v[38:39], v[152:153], v[92:93], -v[16:17]
	v_add_f64 v[16:17], v[18:19], v[20:21]
	v_mul_f64 v[32:33], v[160:161], v[106:107]
	v_mul_f64 v[34:35], v[152:153], v[94:95]
	v_accvgpr_write_b32 a52, v30
	v_accvgpr_write_b32 a51, v29
	;; [unrolled: 1-line block ×3, first 2 shown]
	v_fmac_f64_e32 v[12:13], v[158:159], v[28:29]
	v_fma_f64 v[28:29], v[164:165], v[88:89], -v[4:5]
	v_fma_f64 v[30:31], v[148:149], v[36:37], -v[6:7]
	;; [unrolled: 1-line block ×3, first 2 shown]
	v_accvgpr_write_b32 a66, v92
	v_add_f64 v[14:15], v[144:145], v[18:19]
	v_add_f64 v[96:97], v[24:25], -v[26:27]
	v_fmac_f64_e32 v[144:145], -0.5, v[16:17]
	v_add_f64 v[16:17], v[142:143], v[24:25]
	v_add_f64 v[24:25], v[24:25], v[26:27]
	v_fmac_f64_e32 v[32:33], v[162:163], v[104:105]
	v_accvgpr_write_b32 a67, v93
	v_accvgpr_write_b32 a68, v94
	v_accvgpr_write_b32 a69, v95
	v_fmac_f64_e32 v[34:35], v[154:155], v[92:93]
	v_add_f64 v[92:93], v[18:19], -v[20:21]
	v_add_f64 v[18:19], v[140:141], v[28:29]
	v_add_f64 v[94:95], v[28:29], v[30:31]
	;; [unrolled: 1-line block ×3, first 2 shown]
	v_fmac_f64_e32 v[142:143], -0.5, v[24:25]
	v_add_f64 v[26:27], v[28:29], -v[30:31]
	v_add_f64 v[28:29], v[36:37], v[38:39]
	v_accvgpr_write_b32 a62, v88
	v_fma_f64 v[24:25], s[14:15], v[26:27], v[142:143]
	v_fmac_f64_e32 v[142:143], s[2:3], v[26:27]
	v_add_f64 v[26:27], v[132:133], v[36:37]
	v_fmac_f64_e32 v[132:133], -0.5, v[28:29]
	v_add_f64 v[28:29], v[32:33], -v[34:35]
	v_accvgpr_write_b32 a63, v89
	v_accvgpr_write_b32 a64, v90
	;; [unrolled: 1-line block ×3, first 2 shown]
	s_waitcnt vmcnt(1)
	v_mul_f64 v[0:1], v[130:131], v[176:177]
	s_waitcnt vmcnt(0)
	v_mul_f64 v[4:5], v[126:127], v[110:111]
	v_add_f64 v[22:23], v[10:11], -v[12:13]
	v_add_f64 v[88:89], v[146:147], v[10:11]
	v_add_f64 v[90:91], v[10:11], v[12:13]
	;; [unrolled: 1-line block ×4, first 2 shown]
	v_fma_f64 v[30:31], s[2:3], v[28:29], v[132:133]
	v_fmac_f64_e32 v[132:133], s[14:15], v[28:29]
	v_add_f64 v[28:29], v[134:135], v[32:33]
	v_add_f64 v[32:33], v[32:33], v[34:35]
	v_mul_f64 v[2:3], v[128:129], v[176:177]
	v_mul_f64 v[6:7], v[124:125], v[110:111]
	v_fma_f64 v[0:1], v[128:129], v[174:175], -v[0:1]
	v_fma_f64 v[4:5], v[124:125], v[108:109], -v[4:5]
	v_add_f64 v[28:29], v[28:29], v[34:35]
	v_fmac_f64_e32 v[134:135], -0.5, v[32:33]
	v_add_f64 v[34:35], v[36:37], -v[38:39]
	v_fmac_f64_e32 v[2:3], v[130:131], v[174:175]
	v_fmac_f64_e32 v[6:7], v[126:127], v[108:109]
	v_fma_f64 v[32:33], s[14:15], v[34:35], v[134:135]
	v_fmac_f64_e32 v[134:135], s[2:3], v[34:35]
	v_add_f64 v[34:35], v[0:1], v[4:5]
	v_fma_f64 v[192:193], -0.5, v[34:35], v[120:121]
	v_add_f64 v[34:35], v[2:3], -v[6:7]
	v_fma_f64 v[188:189], s[2:3], v[34:35], v[192:193]
	v_fmac_f64_e32 v[192:193], s[14:15], v[34:35]
	v_add_f64 v[34:35], v[2:3], v[6:7]
	v_fma_f64 v[194:195], -0.5, v[34:35], v[122:123]
	v_add_f64 v[34:35], v[0:1], -v[4:5]
	v_fma_f64 v[190:191], s[14:15], v[34:35], v[194:195]
	v_fmac_f64_e32 v[194:195], s[2:3], v[34:35]
	v_mul_u32_u24_e32 v34, 0x4e, v98
	v_add_f64 v[12:13], v[88:89], v[12:13]
	v_fmac_f64_e32 v[146:147], -0.5, v[90:91]
	v_fmac_f64_e32 v[140:141], -0.5, v[94:95]
	v_add_lshl_u32 v117, v34, v99, 4
	v_fma_f64 v[18:19], s[2:3], v[22:23], v[144:145]
	v_fmac_f64_e32 v[144:145], s[14:15], v[22:23]
	v_fma_f64 v[20:21], s[14:15], v[92:93], v[146:147]
	v_fmac_f64_e32 v[146:147], s[2:3], v[92:93]
	;; [unrolled: 2-line block ×3, first 2 shown]
	s_movk_i32 s14, 0x4e
	ds_write_b128 v117, v[10:13]
	ds_write_b128 v117, v[18:21] offset:416
	ds_write_b128 v117, v[144:147] offset:832
	v_mul_u32_u24_e32 v10, 0x4e, v100
	v_accvgpr_write_b32 a70, v104
	v_accvgpr_write_b32 a78, v174
	;; [unrolled: 1-line block ×3, first 2 shown]
	v_add_lshl_u32 v118, v10, v101, 4
	v_mad_legacy_u16 v10, v102, s14, v103
	v_accvgpr_write_b32 a71, v105
	v_accvgpr_write_b32 a72, v106
	v_accvgpr_write_b32 a73, v107
	v_accvgpr_write_b32 a79, v175
	v_accvgpr_write_b32 a80, v176
	v_accvgpr_write_b32 a81, v177
	v_accvgpr_write_b32 a75, v109
	v_accvgpr_write_b32 a76, v110
	v_accvgpr_write_b32 a77, v111
	v_add_f64 v[26:27], v[26:27], v[38:39]
	v_lshlrev_b32_e32 v119, 4, v10
	ds_write_b128 v118, v[14:17]
	ds_write_b128 v118, v[22:25] offset:416
	ds_write_b128 v118, v[140:143] offset:832
	ds_write_b128 v119, v[26:29]
	ds_write_b128 v119, v[30:33] offset:416
	ds_write_b128 v119, v[132:135] offset:832
	s_and_saveexec_b64 s[2:3], vcc
	s_cbranch_execz .LBB0_9
; %bb.8:
	v_add_f64 v[0:1], v[120:121], v[0:1]
	v_add_f64 v[2:3], v[122:123], v[2:3]
	;; [unrolled: 1-line block ×3, first 2 shown]
	v_mad_legacy_u16 v4, v115, s14, v116
	v_add_f64 v[2:3], v[2:3], v[6:7]
	v_lshlrev_b32_e32 v4, 4, v4
	ds_write_b128 v4, v[0:3]
	ds_write_b128 v4, v[188:191] offset:416
	ds_write_b128 v4, v[192:195] offset:832
.LBB0_9:
	s_or_b64 exec, exec, s[2:3]
	s_movk_i32 s2, 0xffb2
	s_mov_b32 s3, -1
	v_lshl_add_u64 v[0:1], v[244:245], 0, s[2:3]
	v_cmp_gt_u16_e64 s[2:3], s14, v244
	s_waitcnt lgkmcnt(0)
	s_barrier
	v_cndmask_b32_e64 v1, v1, 0, s[2:3]
	v_cndmask_b32_e64 v0, v0, v244, s[2:3]
	v_lshlrev_b64 v[2:3], 6, v[0:1]
	v_lshrrev_b16_e32 v1, 1, v172
	v_and_b32_e32 v1, 0x7f, v1
	v_lshl_add_u64 v[2:3], s[10:11], 0, v[2:3]
	v_mul_lo_u16_e32 v1, 0xd3, v1
	global_load_dwordx4 v[132:135], v[2:3], off offset:1216
	global_load_dwordx4 v[128:131], v[2:3], off offset:1232
	global_load_dwordx4 v[124:127], v[2:3], off offset:1248
	global_load_dwordx4 v[120:123], v[2:3], off offset:1264
	v_lshrrev_b16_e32 v1, 13, v1
	v_mul_lo_u16_e32 v2, 0x4e, v1
	v_sub_u16_e32 v2, v172, v2
	v_and_b32_e32 v114, 0xff, v2
	v_lshlrev_b32_e32 v2, 6, v114
	global_load_dwordx4 v[152:155], v2, s[10:11] offset:1216
	global_load_dwordx4 v[148:151], v2, s[10:11] offset:1232
	;; [unrolled: 1-line block ×4, first 2 shown]
	ds_read_b128 v[160:163], v236
	ds_read_b128 v[156:159], v236 offset:1872
	ds_read_b128 v[2:5], v236 offset:3744
	;; [unrolled: 1-line block ×9, first 2 shown]
	s_mov_b32 s14, 0x134454ff
	s_mov_b32 s15, 0x3fee6f0e
	;; [unrolled: 1-line block ×10, first 2 shown]
	s_waitcnt lgkmcnt(0)
	s_barrier
	s_waitcnt vmcnt(7)
	v_mul_f64 v[6:7], v[4:5], v[134:135]
	s_waitcnt vmcnt(6)
	v_mul_f64 v[88:89], v[16:17], v[130:131]
	;; [unrolled: 2-line block ×3, first 2 shown]
	v_mul_f64 v[38:39], v[2:3], v[134:135]
	v_mul_f64 v[94:95], v[22:23], v[126:127]
	s_waitcnt vmcnt(4)
	v_mul_f64 v[96:97], v[32:33], v[122:123]
	v_mul_f64 v[98:99], v[30:31], v[122:123]
	v_fma_f64 v[6:7], v[2:3], v[132:133], -v[6:7]
	v_fma_f64 v[88:89], v[14:15], v[128:129], -v[88:89]
	v_fma_f64 v[22:23], v[22:23], v[124:125], -v[92:93]
	v_mul_f64 v[90:91], v[14:15], v[130:131]
	v_fmac_f64_e32 v[38:39], v[4:5], v[132:133]
	v_fmac_f64_e32 v[94:95], v[24:25], v[124:125]
	v_fma_f64 v[24:25], v[30:31], v[120:121], -v[96:97]
	v_fmac_f64_e32 v[98:99], v[32:33], v[120:121]
	v_add_f64 v[2:3], v[160:161], v[6:7]
	v_add_f64 v[4:5], v[88:89], v[22:23]
	v_fmac_f64_e32 v[90:91], v[16:17], v[128:129]
	v_add_f64 v[16:17], v[38:39], -v[98:99]
	v_add_f64 v[14:15], v[6:7], -v[88:89]
	;; [unrolled: 1-line block ×3, first 2 shown]
	s_waitcnt vmcnt(3)
	v_mul_f64 v[92:93], v[12:13], v[154:155]
	v_add_f64 v[112:113], v[2:3], v[88:89]
	v_fma_f64 v[2:3], -0.5, v[4:5], v[160:161]
	v_add_f64 v[30:31], v[90:91], -v[94:95]
	v_mul_f64 v[96:97], v[10:11], v[154:155]
	v_add_f64 v[4:5], v[14:15], v[32:33]
	v_fma_f64 v[32:33], v[10:11], v[152:153], -v[92:93]
	v_fma_f64 v[10:11], s[14:15], v[16:17], v[2:3]
	v_fmac_f64_e32 v[2:3], s[18:19], v[16:17]
	v_fmac_f64_e32 v[10:11], s[2:3], v[30:31]
	;; [unrolled: 1-line block ×5, first 2 shown]
	v_add_f64 v[4:5], v[6:7], v[24:25]
	s_waitcnt vmcnt(2)
	v_mul_f64 v[100:101], v[20:21], v[150:151]
	v_fmac_f64_e32 v[96:97], v[12:13], v[152:153]
	v_add_f64 v[12:13], v[112:113], v[22:23]
	v_fmac_f64_e32 v[160:161], -0.5, v[4:5]
	v_mul_f64 v[102:103], v[18:19], v[150:151]
	v_fma_f64 v[92:93], v[18:19], v[148:149], -v[100:101]
	v_add_f64 v[14:15], v[12:13], v[24:25]
	v_fma_f64 v[18:19], s[18:19], v[30:31], v[160:161]
	v_add_f64 v[4:5], v[88:89], -v[6:7]
	v_add_f64 v[12:13], v[22:23], -v[24:25]
	v_fmac_f64_e32 v[160:161], s[14:15], v[30:31]
	v_fmac_f64_e32 v[18:19], s[2:3], v[16:17]
	v_add_f64 v[4:5], v[4:5], v[12:13]
	v_fmac_f64_e32 v[160:161], s[20:21], v[16:17]
	v_fmac_f64_e32 v[18:19], s[16:17], v[4:5]
	;; [unrolled: 1-line block ×3, first 2 shown]
	v_add_f64 v[4:5], v[162:163], v[38:39]
	v_add_f64 v[4:5], v[4:5], v[90:91]
	;; [unrolled: 1-line block ×5, first 2 shown]
	v_fma_f64 v[4:5], -0.5, v[4:5], v[162:163]
	v_add_f64 v[6:7], v[6:7], -v[24:25]
	v_fmac_f64_e32 v[102:103], v[20:21], v[148:149]
	v_fma_f64 v[12:13], s[18:19], v[6:7], v[4:5]
	v_add_f64 v[22:23], v[88:89], -v[22:23]
	v_add_f64 v[20:21], v[38:39], -v[90:91]
	;; [unrolled: 1-line block ×3, first 2 shown]
	v_fmac_f64_e32 v[4:5], s[14:15], v[6:7]
	v_fmac_f64_e32 v[12:13], s[20:21], v[22:23]
	v_add_f64 v[20:21], v[20:21], v[24:25]
	v_fmac_f64_e32 v[4:5], s[2:3], v[22:23]
	v_fmac_f64_e32 v[12:13], s[16:17], v[20:21]
	;; [unrolled: 1-line block ×3, first 2 shown]
	v_add_f64 v[20:21], v[38:39], v[98:99]
	v_fmac_f64_e32 v[162:163], -0.5, v[20:21]
	v_fma_f64 v[20:21], s[14:15], v[22:23], v[162:163]
	v_fmac_f64_e32 v[162:163], s[18:19], v[22:23]
	s_waitcnt vmcnt(1)
	v_mul_f64 v[104:105], v[28:29], v[146:147]
	v_fmac_f64_e32 v[20:21], s[20:21], v[6:7]
	v_fmac_f64_e32 v[162:163], s[2:3], v[6:7]
	v_add_f64 v[6:7], v[156:157], v[32:33]
	v_mul_f64 v[106:107], v[26:27], v[146:147]
	s_waitcnt vmcnt(0)
	v_mul_f64 v[108:109], v[36:37], v[142:143]
	v_fma_f64 v[100:101], v[26:27], v[144:145], -v[104:105]
	v_add_f64 v[6:7], v[6:7], v[92:93]
	v_mul_f64 v[110:111], v[34:35], v[142:143]
	v_fmac_f64_e32 v[106:107], v[28:29], v[144:145]
	v_fma_f64 v[28:29], v[34:35], v[140:141], -v[108:109]
	v_add_f64 v[6:7], v[6:7], v[100:101]
	v_fmac_f64_e32 v[110:111], v[36:37], v[140:141]
	v_add_f64 v[24:25], v[90:91], -v[38:39]
	v_add_f64 v[26:27], v[94:95], -v[98:99]
	v_add_f64 v[22:23], v[6:7], v[28:29]
	v_add_f64 v[6:7], v[92:93], v[100:101]
	;; [unrolled: 1-line block ×3, first 2 shown]
	v_fma_f64 v[196:197], -0.5, v[6:7], v[156:157]
	v_add_f64 v[6:7], v[96:97], -v[110:111]
	v_fmac_f64_e32 v[20:21], s[16:17], v[24:25]
	v_fmac_f64_e32 v[162:163], s[16:17], v[24:25]
	v_fma_f64 v[26:27], s[14:15], v[6:7], v[196:197]
	v_add_f64 v[24:25], v[102:103], -v[106:107]
	v_add_f64 v[30:31], v[32:33], -v[92:93]
	v_add_f64 v[34:35], v[28:29], -v[100:101]
	v_fmac_f64_e32 v[196:197], s[18:19], v[6:7]
	v_fmac_f64_e32 v[26:27], s[2:3], v[24:25]
	v_add_f64 v[30:31], v[30:31], v[34:35]
	v_fmac_f64_e32 v[196:197], s[20:21], v[24:25]
	v_fmac_f64_e32 v[26:27], s[16:17], v[30:31]
	;; [unrolled: 1-line block ×3, first 2 shown]
	v_add_f64 v[30:31], v[32:33], v[28:29]
	v_fmac_f64_e32 v[156:157], -0.5, v[30:31]
	v_fma_f64 v[30:31], s[18:19], v[24:25], v[156:157]
	v_fmac_f64_e32 v[156:157], s[14:15], v[24:25]
	v_fmac_f64_e32 v[30:31], s[2:3], v[6:7]
	;; [unrolled: 1-line block ×3, first 2 shown]
	v_add_f64 v[6:7], v[158:159], v[96:97]
	v_add_f64 v[6:7], v[6:7], v[102:103]
	;; [unrolled: 1-line block ×3, first 2 shown]
	v_add_f64 v[34:35], v[92:93], -v[32:33]
	v_add_f64 v[36:37], v[100:101], -v[28:29]
	v_add_f64 v[24:25], v[6:7], v[110:111]
	v_add_f64 v[6:7], v[102:103], v[106:107]
	;; [unrolled: 1-line block ×3, first 2 shown]
	v_fma_f64 v[198:199], -0.5, v[6:7], v[158:159]
	v_add_f64 v[6:7], v[32:33], -v[28:29]
	v_fmac_f64_e32 v[30:31], s[16:17], v[34:35]
	v_fmac_f64_e32 v[156:157], s[16:17], v[34:35]
	v_fma_f64 v[28:29], s[18:19], v[6:7], v[198:199]
	v_add_f64 v[34:35], v[92:93], -v[100:101]
	v_add_f64 v[32:33], v[96:97], -v[102:103]
	;; [unrolled: 1-line block ×3, first 2 shown]
	v_fmac_f64_e32 v[198:199], s[14:15], v[6:7]
	v_fmac_f64_e32 v[28:29], s[20:21], v[34:35]
	v_add_f64 v[32:33], v[32:33], v[36:37]
	v_fmac_f64_e32 v[198:199], s[2:3], v[34:35]
	v_fmac_f64_e32 v[28:29], s[16:17], v[32:33]
	;; [unrolled: 1-line block ×3, first 2 shown]
	v_add_f64 v[32:33], v[96:97], v[110:111]
	v_fmac_f64_e32 v[158:159], -0.5, v[32:33]
	v_fma_f64 v[32:33], s[14:15], v[34:35], v[158:159]
	v_fmac_f64_e32 v[158:159], s[18:19], v[34:35]
	v_fmac_f64_e32 v[158:159], s[2:3], v[6:7]
	s_movk_i32 s2, 0x4d
	v_fmac_f64_e32 v[32:33], s[20:21], v[6:7]
	v_mov_b32_e32 v6, 0x186
	v_cmp_lt_u16_e64 s[2:3], s2, v244
	v_add_f64 v[36:37], v[102:103], -v[96:97]
	v_add_f64 v[38:39], v[106:107], -v[110:111]
	v_cndmask_b32_e64 v6, 0, v6, s[2:3]
	v_add_lshl_u32 v237, v0, v6, 4
	v_mul_u32_u24_e32 v0, 0x186, v1
	v_add_f64 v[36:37], v[36:37], v[38:39]
	v_add_lshl_u32 v114, v0, v114, 4
	v_fmac_f64_e32 v[32:33], s[16:17], v[36:37]
	v_fmac_f64_e32 v[158:159], s[16:17], v[36:37]
	ds_write_b128 v237, v[14:17]
	ds_write_b128 v237, v[10:13] offset:1248
	ds_write_b128 v237, v[18:21] offset:2496
	;; [unrolled: 1-line block ×4, first 2 shown]
	ds_write_b128 v114, v[22:25]
	ds_write_b128 v114, v[26:29] offset:1248
	ds_write_b128 v114, v[30:33] offset:2496
	;; [unrolled: 1-line block ×4, first 2 shown]
	s_waitcnt lgkmcnt(0)
	s_barrier
	ds_read_b128 v[208:211], v236
	ds_read_b128 v[204:207], v236 offset:1872
	ds_read_b128 v[172:175], v236 offset:12480
	;; [unrolled: 1-line block ×8, first 2 shown]
	s_and_saveexec_b64 s[2:3], vcc
	s_cbranch_execz .LBB0_11
; %bb.10:
	ds_read_b128 v[196:199], v236 offset:5616
	ds_read_b128 v[188:191], v236 offset:11856
	;; [unrolled: 1-line block ×3, first 2 shown]
.LBB0_11:
	s_or_b64 exec, exec, s[2:3]
	v_accvgpr_read_b32 v0, a44
	v_lshlrev_b32_e32 v216, 4, v9
	v_mov_b32_e32 v217, 0
	v_add_u32_e32 v32, 0x3a80, v0
	v_lshl_add_u64 v[0:1], s[10:11], 0, v[216:217]
	s_mov_b64 s[14:15], 0x1840
	s_movk_i32 s16, 0x1000
	v_lshl_add_u64 v[2:3], v[0:1], 0, s[14:15]
	v_add_co_u32_e64 v0, s[2:3], s16, v0
	v_lshlrev_b32_e32 v216, 4, v8
	s_nop 0
	v_addc_co_u32_e64 v1, s[2:3], 0, v1, s[2:3]
	global_load_dwordx4 v[156:159], v[0:1], off offset:2112
	global_load_dwordx4 v[160:163], v[2:3], off offset:16
	v_lshl_add_u64 v[8:9], s[10:11], 0, v[216:217]
	v_lshl_add_u64 v[10:11], v[8:9], 0, s[14:15]
	v_add_co_u32_e64 v8, s[2:3], s16, v8
	v_accvgpr_read_b32 v16, a48
	s_nop 0
	v_addc_co_u32_e64 v9, s[2:3], 0, v9, s[2:3]
	v_mov_b32_e32 v17, v217
	v_lshl_add_u64 v[16:17], s[10:11], 0, v[16:17]
	v_lshl_add_u64 v[18:19], v[16:17], 0, s[14:15]
	v_add_co_u32_e64 v16, s[2:3], s16, v16
	v_accvgpr_read_b32 v24, a82
	s_nop 0
	v_addc_co_u32_e64 v17, s[2:3], 0, v17, s[2:3]
	s_movk_i32 s2, 0xffd9
	s_mov_b32 s3, -1
	v_accvgpr_read_b32 v25, a83
	v_accvgpr_read_b32 v38, a48
	s_waitcnt vmcnt(1) lgkmcnt(4)
	v_mul_f64 v[0:1], v[178:179], v[158:159]
	v_mul_f64 v[2:3], v[176:177], v[158:159]
	s_waitcnt vmcnt(0)
	v_mul_f64 v[4:5], v[174:175], v[162:163]
	v_mul_f64 v[6:7], v[172:173], v[162:163]
	v_fma_f64 v[0:1], v[176:177], v[156:157], -v[0:1]
	v_fmac_f64_e32 v[2:3], v[178:179], v[156:157]
	v_fma_f64 v[4:5], v[172:173], v[160:161], -v[4:5]
	v_fmac_f64_e32 v[6:7], v[174:175], v[160:161]
	global_load_dwordx4 v[172:175], v[8:9], off offset:2112
	global_load_dwordx4 v[176:179], v[10:11], off offset:16
	s_waitcnt vmcnt(1) lgkmcnt(2)
	v_mul_f64 v[8:9], v[186:187], v[174:175]
	v_mul_f64 v[10:11], v[184:185], v[174:175]
	s_waitcnt vmcnt(0)
	v_mul_f64 v[12:13], v[182:183], v[178:179]
	v_mul_f64 v[14:15], v[180:181], v[178:179]
	v_fma_f64 v[8:9], v[184:185], v[172:173], -v[8:9]
	v_fmac_f64_e32 v[10:11], v[186:187], v[172:173]
	v_fma_f64 v[12:13], v[180:181], v[176:177], -v[12:13]
	v_fmac_f64_e32 v[14:15], v[182:183], v[176:177]
	global_load_dwordx4 v[180:183], v[16:17], off offset:2112
	global_load_dwordx4 v[184:187], v[18:19], off offset:16
	s_waitcnt vmcnt(1) lgkmcnt(1)
	v_mul_f64 v[16:17], v[170:171], v[182:183]
	s_waitcnt vmcnt(0) lgkmcnt(0)
	v_mul_f64 v[18:19], v[166:167], v[186:187]
	v_fma_f64 v[22:23], v[164:165], v[184:185], -v[18:19]
	v_lshl_add_u64 v[18:19], v[244:245], 0, s[2:3]
	v_cndmask_b32_e32 v19, v19, v25, vcc
	v_cndmask_b32_e32 v18, v18, v24, vcc
	v_lshlrev_b64 v[18:19], 5, v[18:19]
	v_lshl_add_u64 v[18:19], s[10:11], 0, v[18:19]
	v_lshl_add_u64 v[24:25], v[18:19], 0, s[14:15]
	v_add_co_u32_e64 v18, s[2:3], s16, v18
	s_mov_b32 s11, 0xbfebb67a
	s_nop 0
	v_addc_co_u32_e64 v19, s[2:3], 0, v19, s[2:3]
	global_load_dwordx4 v[34:37], v[18:19], off offset:2112
	global_load_dwordx4 v[88:91], v[24:25], off offset:16
	s_mov_b32 s2, 0xe8584caa
	s_mov_b32 s3, 0x3febb67a
	;; [unrolled: 1-line block ×3, first 2 shown]
	v_fma_f64 v[16:17], v[168:169], v[180:181], -v[16:17]
	v_mul_f64 v[20:21], v[168:169], v[182:183]
	v_mul_f64 v[28:29], v[164:165], v[186:187]
	v_fmac_f64_e32 v[20:21], v[170:171], v[180:181]
	v_fmac_f64_e32 v[28:29], v[166:167], v[184:185]
	s_waitcnt vmcnt(1)
	v_mul_f64 v[18:19], v[190:191], v[36:37]
	v_mul_f64 v[26:27], v[188:189], v[36:37]
	v_accvgpr_write_b32 a101, v37
	v_fma_f64 v[18:19], v[188:189], v[34:35], -v[18:19]
	v_accvgpr_write_b32 a100, v36
	v_accvgpr_write_b32 a99, v35
	;; [unrolled: 1-line block ×3, first 2 shown]
	v_fmac_f64_e32 v[26:27], v[190:191], v[34:35]
	v_add_f64 v[34:35], v[208:209], v[0:1]
	v_add_f64 v[212:213], v[34:35], v[4:5]
	;; [unrolled: 1-line block ×3, first 2 shown]
	v_fmac_f64_e32 v[208:209], -0.5, v[34:35]
	v_add_f64 v[36:37], v[2:3], -v[6:7]
	v_fma_f64 v[34:35], s[2:3], v[36:37], v[208:209]
	v_fmac_f64_e32 v[208:209], s[10:11], v[36:37]
	v_add_f64 v[36:37], v[210:211], v[2:3]
	v_add_f64 v[2:3], v[2:3], v[6:7]
	v_fmac_f64_e32 v[210:211], -0.5, v[2:3]
	v_add_f64 v[0:1], v[0:1], -v[4:5]
	v_add_f64 v[2:3], v[8:9], v[12:13]
	v_add_f64 v[214:215], v[36:37], v[6:7]
	v_fma_f64 v[36:37], s[10:11], v[0:1], v[210:211]
	v_fmac_f64_e32 v[210:211], s[2:3], v[0:1]
	v_add_f64 v[0:1], v[204:205], v[8:9]
	v_fmac_f64_e32 v[204:205], -0.5, v[2:3]
	v_add_f64 v[2:3], v[10:11], -v[14:15]
	v_add_f64 v[6:7], v[10:11], v[14:15]
	v_fma_f64 v[4:5], s[2:3], v[2:3], v[204:205]
	v_fmac_f64_e32 v[204:205], s[10:11], v[2:3]
	v_add_f64 v[2:3], v[206:207], v[10:11]
	v_fmac_f64_e32 v[206:207], -0.5, v[6:7]
	v_add_f64 v[8:9], v[8:9], -v[12:13]
	v_add_f64 v[10:11], v[16:17], v[22:23]
	s_waitcnt vmcnt(0)
	v_mul_f64 v[24:25], v[194:195], v[90:91]
	v_add_f64 v[2:3], v[2:3], v[14:15]
	v_fma_f64 v[6:7], s[10:11], v[8:9], v[206:207]
	v_fmac_f64_e32 v[206:207], s[2:3], v[8:9]
	v_add_f64 v[8:9], v[200:201], v[16:17]
	v_fmac_f64_e32 v[200:201], -0.5, v[10:11]
	v_add_f64 v[10:11], v[20:21], -v[28:29]
	v_add_f64 v[14:15], v[20:21], v[28:29]
	v_fma_f64 v[24:25], v[192:193], v[88:89], -v[24:25]
	v_mul_f64 v[30:31], v[192:193], v[90:91]
	v_add_f64 v[0:1], v[0:1], v[12:13]
	v_fma_f64 v[12:13], s[2:3], v[10:11], v[200:201]
	v_fmac_f64_e32 v[200:201], s[10:11], v[10:11]
	v_add_f64 v[10:11], v[202:203], v[20:21]
	v_fmac_f64_e32 v[202:203], -0.5, v[14:15]
	v_add_f64 v[16:17], v[16:17], -v[22:23]
	v_fmac_f64_e32 v[30:31], v[194:195], v[88:89]
	v_fma_f64 v[14:15], s[10:11], v[16:17], v[202:203]
	v_fmac_f64_e32 v[202:203], s[2:3], v[16:17]
	v_add_f64 v[16:17], v[18:19], v[24:25]
	v_fma_f64 v[192:193], -0.5, v[16:17], v[196:197]
	v_add_f64 v[16:17], v[26:27], -v[30:31]
	v_fma_f64 v[188:189], s[2:3], v[16:17], v[192:193]
	v_fmac_f64_e32 v[192:193], s[10:11], v[16:17]
	v_add_f64 v[16:17], v[26:27], v[30:31]
	v_accvgpr_write_b32 a105, v91
	v_fma_f64 v[194:195], -0.5, v[16:17], v[198:199]
	v_add_f64 v[16:17], v[18:19], -v[24:25]
	v_accvgpr_write_b32 a104, v90
	v_accvgpr_write_b32 a103, v89
	;; [unrolled: 1-line block ×3, first 2 shown]
	v_fma_f64 v[190:191], s[10:11], v[16:17], v[194:195]
	v_fmac_f64_e32 v[194:195], s[2:3], v[16:17]
	v_add_f64 v[8:9], v[8:9], v[22:23]
	v_add_f64 v[10:11], v[10:11], v[28:29]
	ds_write_b128 v236, v[212:215]
	ds_write_b128 v236, v[34:37] offset:6240
	ds_write_b128 v236, v[208:211] offset:12480
	;; [unrolled: 1-line block ×8, first 2 shown]
	s_and_saveexec_b64 s[2:3], vcc
	s_cbranch_execz .LBB0_13
; %bb.12:
	v_add_f64 v[0:1], v[198:199], v[26:27]
	v_add_f64 v[2:3], v[0:1], v[30:31]
	;; [unrolled: 1-line block ×4, first 2 shown]
	ds_write_b128 v236, v[0:3] offset:5616
	ds_write_b128 v236, v[188:191] offset:11856
	;; [unrolled: 1-line block ×3, first 2 shown]
.LBB0_13:
	s_or_b64 exec, exec, s[2:3]
	v_lshlrev_b32_e32 v216, 4, v244
	v_lshl_add_u64 v[0:1], s[8:9], 0, v[216:217]
	s_mov_b64 s[2:3], 0x4920
	v_lshl_add_u64 v[16:17], v[0:1], 0, s[2:3]
	s_movk_i32 s2, 0x4000
	v_add_co_u32_e64 v6, s[2:3], s2, v0
	s_waitcnt lgkmcnt(0)
	s_nop 0
	v_addc_co_u32_e64 v7, s[2:3], 0, v1, s[2:3]
	s_barrier
	global_load_dwordx4 v[6:9], v[6:7], off offset:2336
	ds_read_b128 v[2:5], v236
	s_movk_i32 s2, 0x6000
	s_waitcnt vmcnt(0) lgkmcnt(0)
	v_mul_f64 v[10:11], v[4:5], v[8:9]
	v_fma_f64 v[10:11], v[2:3], v[6:7], -v[10:11]
	v_mul_f64 v[12:13], v[2:3], v[8:9]
	v_add_co_u32_e64 v2, s[2:3], s2, v0
	v_fmac_f64_e32 v[12:13], v[4:5], v[6:7]
	s_nop 0
	v_addc_co_u32_e64 v3, s[2:3], 0, v1, s[2:3]
	ds_write_b128 v236, v[10:13]
	global_load_dwordx4 v[8:11], v[2:3], off offset:3504
	ds_read_b128 v[4:7], v236 offset:9360
	s_movk_i32 s2, 0x7000
	v_add_co_u32_e64 v18, s[2:3], s2, v0
	s_waitcnt vmcnt(0) lgkmcnt(0)
	v_mul_f64 v[12:13], v[6:7], v[10:11]
	v_mul_f64 v[14:15], v[4:5], v[10:11]
	v_fma_f64 v[12:13], v[4:5], v[8:9], -v[12:13]
	v_fmac_f64_e32 v[14:15], v[6:7], v[8:9]
	global_load_dwordx4 v[8:11], v[16:17], off offset:1872
	ds_read_b128 v[4:7], v236 offset:1872
	ds_write_b128 v236, v[12:15] offset:9360
	v_addc_co_u32_e64 v19, s[2:3], 0, v1, s[2:3]
	s_movk_i32 s2, 0x5000
	s_waitcnt vmcnt(0) lgkmcnt(1)
	v_mul_f64 v[12:13], v[6:7], v[10:11]
	v_mul_f64 v[14:15], v[4:5], v[10:11]
	v_fma_f64 v[12:13], v[4:5], v[8:9], -v[12:13]
	v_fmac_f64_e32 v[14:15], v[6:7], v[8:9]
	global_load_dwordx4 v[8:11], v[18:19], off offset:1280
	ds_read_b128 v[4:7], v236 offset:11232
	ds_write_b128 v236, v[12:15] offset:1872
	s_waitcnt vmcnt(0) lgkmcnt(1)
	v_mul_f64 v[12:13], v[6:7], v[10:11]
	v_mul_f64 v[14:15], v[4:5], v[10:11]
	v_fma_f64 v[12:13], v[4:5], v[8:9], -v[12:13]
	v_fmac_f64_e32 v[14:15], v[6:7], v[8:9]
	global_load_dwordx4 v[8:11], v[16:17], off offset:3744
	ds_read_b128 v[4:7], v236 offset:3744
	ds_write_b128 v236, v[12:15] offset:11232
	;; [unrolled: 8-line block ×3, first 2 shown]
	s_waitcnt vmcnt(0) lgkmcnt(1)
	v_mul_f64 v[12:13], v[6:7], v[10:11]
	v_mul_f64 v[14:15], v[4:5], v[10:11]
	v_fma_f64 v[12:13], v[4:5], v[8:9], -v[12:13]
	v_fmac_f64_e32 v[14:15], v[6:7], v[8:9]
	v_add_co_u32_e64 v8, s[2:3], s2, v0
	ds_read_b128 v[4:7], v236 offset:5616
	s_nop 0
	v_addc_co_u32_e64 v9, s[2:3], 0, v1, s[2:3]
	global_load_dwordx4 v[8:11], v[8:9], off offset:3856
	s_mov_b32 s2, 0x8000
	v_add_co_u32_e64 v16, s[2:3], s2, v0
	ds_write_b128 v236, v[12:15] offset:13104
	s_nop 0
	v_addc_co_u32_e64 v17, s[2:3], 0, v1, s[2:3]
	s_waitcnt vmcnt(0) lgkmcnt(1)
	v_mul_f64 v[12:13], v[6:7], v[10:11]
	v_mul_f64 v[14:15], v[4:5], v[10:11]
	v_fma_f64 v[12:13], v[4:5], v[8:9], -v[12:13]
	v_fmac_f64_e32 v[14:15], v[6:7], v[8:9]
	global_load_dwordx4 v[8:11], v[16:17], off offset:928
	ds_read_b128 v[4:7], v236 offset:14976
	ds_write_b128 v236, v[12:15] offset:5616
	s_waitcnt vmcnt(0) lgkmcnt(1)
	v_mul_f64 v[0:1], v[6:7], v[10:11]
	v_fma_f64 v[12:13], v[4:5], v[8:9], -v[0:1]
	global_load_dwordx4 v[0:3], v[2:3], off offset:1632
	v_mul_f64 v[14:15], v[4:5], v[10:11]
	v_fmac_f64_e32 v[14:15], v[6:7], v[8:9]
	ds_read_b128 v[4:7], v236 offset:7488
	ds_write_b128 v236, v[12:15] offset:14976
	s_waitcnt vmcnt(0) lgkmcnt(1)
	v_mul_f64 v[8:9], v[6:7], v[2:3]
	v_mul_f64 v[10:11], v[4:5], v[2:3]
	v_fma_f64 v[8:9], v[4:5], v[0:1], -v[8:9]
	v_fmac_f64_e32 v[10:11], v[6:7], v[0:1]
	global_load_dwordx4 v[4:7], v[16:17], off offset:2800
	ds_read_b128 v[0:3], v236 offset:16848
	ds_write_b128 v236, v[8:11] offset:7488
	s_waitcnt vmcnt(0) lgkmcnt(1)
	v_mul_f64 v[8:9], v[2:3], v[6:7]
	v_mul_f64 v[10:11], v[0:1], v[6:7]
	v_fma_f64 v[8:9], v[0:1], v[4:5], -v[8:9]
	v_fmac_f64_e32 v[10:11], v[2:3], v[4:5]
	ds_write_b128 v236, v[8:11] offset:16848
	s_waitcnt lgkmcnt(0)
	s_barrier
	ds_read_b128 v[0:3], v236
	ds_read_b128 v[4:7], v236 offset:9360
	ds_read_b128 v[8:11], v236 offset:1872
	;; [unrolled: 1-line block ×9, first 2 shown]
	s_waitcnt lgkmcnt(8)
	v_add_f64 v[200:201], v[0:1], -v[4:5]
	v_add_f64 v[202:203], v[2:3], -v[6:7]
	v_fma_f64 v[196:197], v[0:1], 2.0, -v[200:201]
	v_fma_f64 v[198:199], v[2:3], 2.0, -v[202:203]
	s_waitcnt lgkmcnt(6)
	v_add_f64 v[204:205], v[8:9], -v[12:13]
	v_add_f64 v[206:207], v[10:11], -v[14:15]
	v_accvgpr_read_b32 v0, a44
	v_fma_f64 v[208:209], v[8:9], 2.0, -v[204:205]
	v_fma_f64 v[210:211], v[10:11], 2.0, -v[206:207]
	s_waitcnt lgkmcnt(4)
	v_add_f64 v[212:213], v[16:17], -v[20:21]
	v_add_f64 v[214:215], v[18:19], -v[22:23]
	s_waitcnt lgkmcnt(2)
	v_add_f64 v[220:221], v[24:25], -v[28:29]
	v_add_f64 v[222:223], v[26:27], -v[30:31]
	;; [unrolled: 3-line block ×3, first 2 shown]
	s_barrier
	ds_write_b128 v0, v[196:199]
	ds_write_b128 v0, v[200:203] offset:16
	v_accvgpr_read_b32 v0, a46
	v_fma_f64 v[216:217], v[16:17], 2.0, -v[212:213]
	v_fma_f64 v[218:219], v[18:19], 2.0, -v[214:215]
	v_fma_f64 v[224:225], v[24:25], 2.0, -v[220:221]
	v_fma_f64 v[226:227], v[26:27], 2.0, -v[222:223]
	v_fma_f64 v[232:233], v[34:35], 2.0, -v[228:229]
	v_fma_f64 v[234:235], v[36:37], 2.0, -v[230:231]
	ds_write_b128 v0, v[208:211]
	ds_write_b128 v0, v[204:207] offset:16
	ds_write_b128 v38, v[216:219]
	ds_write_b128 v38, v[212:215] offset:16
	v_accvgpr_read_b32 v0, a47
	ds_write_b128 v0, v[224:227]
	ds_write_b128 v0, v[220:223] offset:16
	ds_write_b128 v32, v[232:235]
	ds_write_b128 v32, v[228:231] offset:16
	s_waitcnt lgkmcnt(0)
	s_barrier
	s_and_saveexec_b64 s[2:3], s[0:1]
	s_cbranch_execz .LBB0_15
; %bb.14:
	ds_read_b128 v[196:199], v236
	ds_read_b128 v[200:203], v236 offset:1440
	ds_read_b128 v[208:211], v236 offset:2880
	;; [unrolled: 1-line block ×12, first 2 shown]
.LBB0_15:
	s_or_b64 exec, exec, s[2:3]
	s_waitcnt lgkmcnt(11)
	v_mul_f64 v[242:243], v[54:55], v[202:203]
	v_mul_f64 v[0:1], v[54:55], v[200:201]
	v_fmac_f64_e32 v[242:243], v[52:53], v[200:201]
	v_fma_f64 v[246:247], v[52:53], v[202:203], -v[0:1]
	s_waitcnt lgkmcnt(10)
	v_mul_f64 v[200:201], v[50:51], v[210:211]
	v_mul_f64 v[0:1], v[50:51], v[208:209]
	v_fmac_f64_e32 v[200:201], v[48:49], v[208:209]
	v_fma_f64 v[208:209], v[48:49], v[210:211], -v[0:1]
	;; [unrolled: 5-line block ×7, first 2 shown]
	s_waitcnt lgkmcnt(4)
	v_mul_f64 v[0:1], v[58:59], v[232:233]
	v_fma_f64 v[222:223], v[56:57], v[234:235], -v[0:1]
	s_waitcnt lgkmcnt(3)
	v_mul_f64 v[214:215], v[86:87], v[230:231]
	v_mul_f64 v[0:1], v[86:87], v[228:229]
	v_fmac_f64_e32 v[214:215], v[84:85], v[228:229]
	v_fma_f64 v[86:87], v[84:85], v[230:231], -v[0:1]
	s_waitcnt lgkmcnt(2)
	v_mul_f64 v[84:85], v[82:83], v[190:191]
	v_mul_f64 v[0:1], v[82:83], v[188:189]
	v_fmac_f64_e32 v[84:85], v[80:81], v[188:189]
	;; [unrolled: 5-line block ×4, first 2 shown]
	v_fma_f64 v[72:73], v[72:73], v[138:139], -v[0:1]
	s_mov_b32 s10, 0x42a4c3d2
	v_add_f64 v[138:139], v[246:247], -v[72:73]
	s_mov_b32 s2, 0x1ea71119
	s_mov_b32 s11, 0xbfea55e2
	;; [unrolled: 1-line block ×3, first 2 shown]
	v_add_f64 v[74:75], v[242:243], v[76:77]
	v_add_f64 v[136:137], v[246:247], v[72:73]
	s_mov_b32 s3, 0x3fe22d96
	v_mul_f64 v[60:61], v[138:139], s[10:11]
	s_mov_b32 s14, 0xb2365da1
	s_mov_b32 s21, 0xbfedeba7
	v_add_f64 v[226:227], v[208:209], -v[78:79]
	v_mul_f64 v[212:213], v[58:59], v[234:235]
	v_add_f64 v[190:191], v[242:243], -v[76:77]
	v_mul_f64 v[62:63], v[136:137], s[2:3]
	v_fma_f64 v[0:1], v[74:75], s[2:3], -v[60:61]
	s_mov_b32 s16, 0x66966769
	s_mov_b32 s15, 0xbfd6b1d8
	v_add_f64 v[188:189], v[200:201], v[80:81]
	v_add_f64 v[192:193], v[208:209], v[78:79]
	v_mul_f64 v[64:65], v[226:227], s[20:21]
	v_fmac_f64_e32 v[212:213], v[56:57], v[232:233]
	v_add_f64 v[2:3], v[196:197], v[0:1]
	v_fma_f64 v[0:1], s[10:11], v[190:191], v[62:63]
	s_mov_b32 s8, 0xebaa3ed8
	s_mov_b32 s17, 0xbfefc445
	v_add_f64 v[232:233], v[200:201], -v[80:81]
	v_mul_f64 v[254:255], v[192:193], s[14:15]
	v_fma_f64 v[14:15], v[188:189], s[14:15], -v[64:65]
	s_mov_b32 s26, 0x4bc48dbf
	v_add_f64 v[4:5], v[198:199], v[0:1]
	s_mov_b32 s9, 0x3fbedb7d
	v_mul_f64 v[66:67], v[138:139], s[16:17]
	v_add_f64 v[2:3], v[14:15], v[2:3]
	v_fma_f64 v[14:15], s[20:21], v[232:233], v[254:255]
	s_mov_b32 s18, 0x93053d00
	s_mov_b32 s27, 0xbfcea1e5
	v_mul_f64 v[0:1], v[136:137], s[8:9]
	v_fma_f64 v[6:7], v[74:75], s[8:9], -v[66:67]
	v_add_f64 v[18:19], v[14:15], v[4:5]
	s_mov_b32 s19, 0xbfef11f4
	v_mul_f64 v[14:15], v[226:227], s[26:27]
	s_mov_b32 s36, 0x24c2f84
	v_add_f64 v[6:7], v[196:197], v[6:7]
	v_fma_f64 v[8:9], s[16:17], v[190:191], v[0:1]
	v_mul_f64 v[16:17], v[138:139], s[20:21]
	v_mul_f64 v[22:23], v[192:193], s[18:19]
	v_fma_f64 v[4:5], v[188:189], s[18:19], -v[14:15]
	s_mov_b32 s22, 0xd0032e0c
	s_mov_b32 s37, 0x3fe5384d
	v_add_f64 v[8:9], v[198:199], v[8:9]
	v_mul_f64 v[30:31], v[136:137], s[14:15]
	v_fma_f64 v[10:11], v[74:75], s[14:15], -v[16:17]
	v_add_f64 v[6:7], v[4:5], v[6:7]
	v_fma_f64 v[4:5], s[26:27], v[232:233], v[22:23]
	s_mov_b32 s23, 0xbfe7f3cc
	v_mul_f64 v[38:39], v[226:227], s[36:37]
	v_add_f64 v[10:11], v[196:197], v[10:11]
	v_fma_f64 v[12:13], s[20:21], v[190:191], v[30:31]
	v_add_f64 v[8:9], v[4:5], v[8:9]
	v_mul_f64 v[54:55], v[192:193], s[22:23]
	v_fma_f64 v[4:5], v[188:189], s[22:23], -v[38:39]
	v_add_f64 v[12:13], v[198:199], v[12:13]
	v_add_f64 v[10:11], v[4:5], v[10:11]
	v_fma_f64 v[4:5], s[36:37], v[232:233], v[54:55]
	v_add_f64 v[252:253], v[210:211], -v[82:83]
	v_add_f64 v[24:25], v[4:5], v[12:13]
	v_add_f64 v[228:229], v[202:203], v[84:85]
	;; [unrolled: 1-line block ×3, first 2 shown]
	v_mul_f64 v[12:13], v[252:253], s[26:27]
	v_add_f64 v[4:5], v[202:203], -v[84:85]
	v_mul_f64 v[20:21], v[234:235], s[18:19]
	v_fma_f64 v[26:27], v[228:229], s[18:19], -v[12:13]
	s_mov_b32 s39, 0x3fedeba7
	s_mov_b32 s38, s20
	v_add_f64 v[26:27], v[26:27], v[2:3]
	v_fma_f64 v[2:3], s[26:27], v[4:5], v[20:21]
	v_mul_f64 v[34:35], v[252:253], s[38:39]
	v_add_f64 v[18:19], v[2:3], v[18:19]
	v_mul_f64 v[166:167], v[234:235], s[14:15]
	v_fma_f64 v[2:3], v[228:229], s[14:15], -v[34:35]
	s_mov_b32 s28, 0xe00740e9
	s_mov_b32 s31, 0x3fddbe06
	;; [unrolled: 1-line block ×3, first 2 shown]
	v_add_f64 v[6:7], v[2:3], v[6:7]
	v_fma_f64 v[2:3], s[38:39], v[4:5], v[166:167]
	s_mov_b32 s29, 0x3fec55a7
	v_mul_f64 v[194:195], v[252:253], s[30:31]
	v_add_f64 v[28:29], v[2:3], v[8:9]
	v_mul_f64 v[98:99], v[234:235], s[28:29]
	v_fma_f64 v[2:3], v[228:229], s[28:29], -v[194:195]
	v_add_f64 v[10:11], v[2:3], v[10:11]
	v_fma_f64 v[2:3], s[30:31], v[4:5], v[98:99]
	v_add_f64 v[8:9], v[216:217], -v[86:87]
	v_add_f64 v[36:37], v[2:3], v[24:25]
	v_add_f64 v[248:249], v[204:205], v[214:215]
	;; [unrolled: 1-line block ×3, first 2 shown]
	v_mul_f64 v[32:33], v[8:9], s[36:37]
	v_add_f64 v[24:25], v[204:205], -v[214:215]
	v_mul_f64 v[164:165], v[2:3], s[22:23]
	v_fma_f64 v[40:41], v[248:249], s[22:23], -v[32:33]
	v_add_f64 v[40:41], v[40:41], v[26:27]
	v_fma_f64 v[26:27], s[36:37], v[24:25], v[164:165]
	v_mul_f64 v[170:171], v[8:9], s[30:31]
	v_add_f64 v[18:19], v[26:27], v[18:19]
	v_mul_f64 v[230:231], v[2:3], s[28:29]
	v_fma_f64 v[26:27], v[248:249], s[28:29], -v[170:171]
	v_add_f64 v[42:43], v[26:27], v[6:7]
	v_fma_f64 v[6:7], s[30:31], v[24:25], v[230:231]
	v_mul_f64 v[94:95], v[8:9], s[16:17]
	v_add_f64 v[28:29], v[6:7], v[28:29]
	v_mul_f64 v[106:107], v[2:3], s[8:9]
	v_fma_f64 v[6:7], v[248:249], s[8:9], -v[94:95]
	v_add_f64 v[44:45], v[6:7], v[10:11]
	v_fma_f64 v[6:7], s[16:17], v[24:25], v[106:107]
	v_add_f64 v[26:27], v[218:219], -v[222:223]
	s_mov_b32 s41, 0x3fefc445
	s_mov_b32 s40, s16
	v_add_f64 v[46:47], v[6:7], v[36:37]
	v_add_f64 v[6:7], v[206:207], v[212:213]
	;; [unrolled: 1-line block ×3, first 2 shown]
	v_mul_f64 v[168:169], v[26:27], s[40:41]
	v_add_f64 v[36:37], v[206:207], -v[212:213]
	v_mul_f64 v[52:53], v[10:11], s[8:9]
	v_fma_f64 v[48:49], v[6:7], s[8:9], -v[168:169]
	v_add_f64 v[40:41], v[48:49], v[40:41]
	v_fma_f64 v[48:49], s[40:41], v[36:37], v[52:53]
	v_mul_f64 v[90:91], v[26:27], s[10:11]
	v_add_f64 v[48:49], v[48:49], v[18:19]
	v_mul_f64 v[96:97], v[10:11], s[2:3]
	v_fma_f64 v[18:19], v[6:7], s[2:3], -v[90:91]
	s_mov_b32 s43, 0x3fcea1e5
	s_mov_b32 s42, s26
	v_add_f64 v[42:43], v[18:19], v[42:43]
	v_fma_f64 v[18:19], s[10:11], v[36:37], v[96:97]
	v_mul_f64 v[102:103], v[26:27], s[42:43]
	v_add_f64 v[50:51], v[18:19], v[28:29]
	v_mul_f64 v[110:111], v[10:11], s[18:19]
	v_fma_f64 v[18:19], v[6:7], s[18:19], -v[102:103]
	v_add_f64 v[56:57], v[18:19], v[44:45]
	v_fma_f64 v[18:19], s[42:43], v[36:37], v[110:111]
	v_add_f64 v[240:241], v[224:225], -v[220:221]
	v_add_f64 v[58:59], v[18:19], v[46:47]
	v_add_f64 v[18:19], v[68:69], v[70:71]
	;; [unrolled: 1-line block ×3, first 2 shown]
	v_mul_f64 v[88:89], v[240:241], s[30:31]
	v_add_f64 v[238:239], v[68:69], -v[70:71]
	v_mul_f64 v[92:93], v[28:29], s[28:29]
	v_fma_f64 v[44:45], v[18:19], s[28:29], -v[88:89]
	s_mov_b32 s35, 0xbfe5384d
	s_mov_b32 s34, s36
	v_add_f64 v[44:45], v[44:45], v[40:41]
	v_fma_f64 v[40:41], s[30:31], v[238:239], v[92:93]
	v_mul_f64 v[100:101], v[240:241], s[34:35]
	v_add_f64 v[46:47], v[40:41], v[48:49]
	v_mul_f64 v[104:105], v[28:29], s[22:23]
	v_fma_f64 v[40:41], v[18:19], s[22:23], -v[100:101]
	s_mov_b32 s45, 0x3fea55e2
	s_mov_b32 s44, s10
	v_add_f64 v[48:49], v[40:41], v[42:43]
	v_fma_f64 v[40:41], s[34:35], v[238:239], v[104:105]
	v_mul_f64 v[108:109], v[240:241], s[44:45]
	v_mul_f64 v[112:113], v[28:29], s[2:3]
	v_add_f64 v[50:51], v[40:41], v[50:51]
	v_fma_f64 v[40:41], v[18:19], s[2:3], -v[108:109]
	v_fma_f64 v[42:43], s[44:45], v[238:239], v[112:113]
	v_add_f64 v[40:41], v[40:41], v[56:57]
	v_add_f64 v[42:43], v[42:43], v[58:59]
	s_barrier
	s_and_saveexec_b64 s[24:25], s[0:1]
	s_cbranch_execz .LBB0_17
; %bb.16:
	v_mul_f64 v[56:57], v[74:75], s[2:3]
	v_accvgpr_write_b32 a113, v57
	v_accvgpr_write_b32 a112, v56
	v_mul_f64 v[56:57], v[190:191], s[10:11]
	v_accvgpr_write_b32 a117, v57
	v_accvgpr_write_b32 a116, v56
	;; [unrolled: 3-line block ×6, first 2 shown]
	v_accvgpr_write_b32 a82, v120
	v_accvgpr_write_b32 a87, v125
	;; [unrolled: 1-line block ×4, first 2 shown]
	v_mul_f64 v[124:125], v[190:191], s[26:27]
	v_accvgpr_write_b32 a114, v56
	v_mul_f64 v[56:57], v[232:233], s[20:21]
	v_accvgpr_write_b32 a83, v121
	v_accvgpr_write_b32 a84, v122
	;; [unrolled: 1-line block ×3, first 2 shown]
	v_mul_f64 v[120:121], v[232:233], s[30:31]
	v_fma_f64 v[126:127], s[18:19], v[136:137], v[124:125]
	v_accvgpr_write_b32 a110, v246
	v_accvgpr_write_b32 a119, v57
	v_accvgpr_write_b32 a127, v65
	v_accvgpr_write_b32 a44, v116
	v_accvgpr_write_b32 a46, v117
	v_mul_f64 v[116:117], v[4:5], s[34:35]
	v_fma_f64 v[122:123], s[28:29], v[192:193], v[120:121]
	v_add_f64 v[126:127], v[198:199], v[126:127]
	v_accvgpr_write_b32 a94, v132
	v_accvgpr_write_b32 a111, v247
	v_mul_f64 v[246:247], v[138:139], s[26:27]
	v_accvgpr_write_b32 a118, v56
	v_mul_f64 v[56:57], v[188:189], s[18:19]
	v_accvgpr_write_b32 a125, v61
	v_accvgpr_write_b32 a126, v64
	v_mul_f64 v[64:65], v[24:25], s[44:45]
	v_accvgpr_write_b32 a135, v67
	v_accvgpr_write_b32 a47, v118
	;; [unrolled: 1-line block ×3, first 2 shown]
	v_fma_f64 v[118:119], s[22:23], v[234:235], v[116:117]
	v_add_f64 v[122:123], v[122:123], v[126:127]
	v_accvgpr_write_b32 a90, v128
	v_accvgpr_write_b32 a95, v133
	;; [unrolled: 1-line block ×4, first 2 shown]
	v_mul_f64 v[132:133], v[226:227], s[30:31]
	v_accvgpr_write_b32 a13, v115
	v_accvgpr_write_b32 a49, v114
	v_fma_f64 v[114:115], v[74:75], s[18:19], -v[246:247]
	v_accvgpr_write_b32 a123, v57
	v_accvgpr_write_b32 a124, v60
	v_mul_f64 v[60:61], v[36:37], s[20:21]
	v_accvgpr_write_b32 a131, v63
	v_accvgpr_write_b32 a134, v66
	v_fma_f64 v[66:67], s[2:3], v[2:3], v[64:65]
	v_add_f64 v[118:119], v[118:119], v[122:123]
	v_accvgpr_write_b32 a91, v129
	v_accvgpr_write_b32 a92, v130
	;; [unrolled: 1-line block ×3, first 2 shown]
	v_mul_f64 v[128:129], v[252:253], s[34:35]
	v_fma_f64 v[134:135], v[188:189], s[28:29], -v[132:133]
	v_add_f64 v[114:115], v[196:197], v[114:115]
	v_accvgpr_write_b32 a122, v56
	v_mul_f64 v[56:57], v[238:239], s[40:41]
	v_accvgpr_write_b32 a130, v62
	v_fma_f64 v[62:63], s[14:15], v[10:11], v[60:61]
	v_add_f64 v[66:67], v[66:67], v[118:119]
	v_mul_f64 v[122:123], v[8:9], s[44:45]
	v_fma_f64 v[130:131], v[228:229], s[22:23], -v[128:129]
	v_add_f64 v[114:115], v[134:135], v[114:115]
	v_fma_f64 v[58:59], s[8:9], v[28:29], v[56:57]
	v_add_f64 v[62:63], v[62:63], v[66:67]
	v_accvgpr_write_b32 a106, v140
	v_mul_f64 v[66:67], v[26:27], s[20:21]
	v_fma_f64 v[126:127], v[248:249], s[2:3], -v[122:123]
	v_add_f64 v[114:115], v[130:131], v[114:115]
	v_accvgpr_write_b32 a107, v141
	v_accvgpr_write_b32 a108, v142
	;; [unrolled: 1-line block ×3, first 2 shown]
	v_add_f64 v[142:143], v[58:59], v[62:63]
	v_mul_f64 v[62:63], v[240:241], s[40:41]
	v_fma_f64 v[118:119], v[6:7], s[14:15], -v[66:67]
	v_add_f64 v[114:115], v[126:127], v[114:115]
	v_fma_f64 v[58:59], v[18:19], s[8:9], -v[62:63]
	v_add_f64 v[114:115], v[118:119], v[114:115]
	v_add_f64 v[140:141], v[58:59], v[114:115]
	v_fma_f64 v[58:59], v[10:11], s[14:15], -v[60:61]
	v_fma_f64 v[60:61], v[2:3], s[2:3], -v[64:65]
	;; [unrolled: 1-line block ×5, first 2 shown]
	v_add_f64 v[116:117], v[198:199], v[116:117]
	v_add_f64 v[114:115], v[114:115], v[116:117]
	;; [unrolled: 1-line block ×4, first 2 shown]
	v_fma_f64 v[56:57], v[28:29], s[8:9], -v[56:57]
	v_add_f64 v[58:59], v[58:59], v[60:61]
	v_fmac_f64_e32 v[246:247], s[18:19], v[74:75]
	v_add_f64 v[58:59], v[56:57], v[58:59]
	v_fmac_f64_e32 v[132:133], s[28:29], v[188:189]
	v_add_f64 v[56:57], v[196:197], v[246:247]
	v_fmac_f64_e32 v[128:129], s[22:23], v[228:229]
	v_add_f64 v[56:57], v[132:133], v[56:57]
	v_fmac_f64_e32 v[122:123], s[2:3], v[248:249]
	v_add_f64 v[56:57], v[128:129], v[56:57]
	v_mul_f64 v[126:127], v[190:191], s[34:35]
	v_add_f64 v[56:57], v[122:123], v[56:57]
	v_mul_f64 v[122:123], v[232:233], s[40:41]
	v_fma_f64 v[128:129], s[22:23], v[136:137], v[126:127]
	v_mul_f64 v[118:119], v[4:5], s[10:11]
	v_fma_f64 v[124:125], s[8:9], v[192:193], v[122:123]
	v_add_f64 v[128:129], v[198:199], v[128:129]
	v_fmac_f64_e32 v[66:67], s[14:15], v[6:7]
	v_mul_f64 v[114:115], v[24:25], s[42:43]
	v_fma_f64 v[120:121], s[2:3], v[234:235], v[118:119]
	v_add_f64 v[124:125], v[124:125], v[128:129]
	v_fmac_f64_e32 v[62:63], s[8:9], v[18:19]
	v_add_f64 v[56:57], v[66:67], v[56:57]
	v_mul_f64 v[66:67], v[36:37], s[30:31]
	v_fma_f64 v[116:117], s[18:19], v[2:3], v[114:115]
	v_add_f64 v[120:121], v[120:121], v[124:125]
	v_add_f64 v[56:57], v[62:63], v[56:57]
	v_mul_f64 v[64:65], v[238:239], s[20:21]
	v_fma_f64 v[62:63], s[28:29], v[10:11], v[66:67]
	v_add_f64 v[116:117], v[116:117], v[120:121]
	v_mul_f64 v[132:133], v[138:139], s[34:35]
	v_fma_f64 v[60:61], s[14:15], v[28:29], v[64:65]
	v_add_f64 v[62:63], v[62:63], v[116:117]
	v_mul_f64 v[130:131], v[226:227], s[40:41]
	v_fma_f64 v[134:135], v[74:75], s[22:23], -v[132:133]
	v_fma_f64 v[126:127], v[136:137], s[22:23], -v[126:127]
	v_fmac_f64_e32 v[132:133], s[22:23], v[74:75]
	v_add_f64 v[62:63], v[60:61], v[62:63]
	v_mul_f64 v[128:129], v[252:253], s[10:11]
	v_fma_f64 v[60:61], v[188:189], s[8:9], -v[130:131]
	v_add_f64 v[134:135], v[196:197], v[134:135]
	v_fma_f64 v[122:123], v[192:193], s[8:9], -v[122:123]
	v_add_f64 v[126:127], v[198:199], v[126:127]
	v_fmac_f64_e32 v[130:131], s[8:9], v[188:189]
	v_add_f64 v[132:133], v[196:197], v[132:133]
	v_mul_f64 v[124:125], v[8:9], s[42:43]
	v_add_f64 v[60:61], v[60:61], v[134:135]
	v_fma_f64 v[134:135], v[228:229], s[2:3], -v[128:129]
	v_add_f64 v[122:123], v[122:123], v[126:127]
	v_fma_f64 v[118:119], v[234:235], s[2:3], -v[118:119]
	v_add_f64 v[130:131], v[130:131], v[132:133]
	v_fmac_f64_e32 v[128:129], s[2:3], v[228:229]
	v_mul_f64 v[120:121], v[26:27], s[30:31]
	v_add_f64 v[60:61], v[134:135], v[60:61]
	v_fma_f64 v[134:135], v[248:249], s[18:19], -v[124:125]
	v_add_f64 v[118:119], v[118:119], v[122:123]
	v_fma_f64 v[114:115], v[2:3], s[18:19], -v[114:115]
	v_add_f64 v[128:129], v[128:129], v[130:131]
	v_fmac_f64_e32 v[124:125], s[18:19], v[248:249]
	;; [unrolled: 7-line block ×3, first 2 shown]
	v_mul_f64 v[244:245], v[190:191], s[20:21]
	v_add_f64 v[60:61], v[134:135], v[60:61]
	v_fma_f64 v[134:135], v[18:19], s[14:15], -v[116:117]
	v_add_f64 v[66:67], v[66:67], v[114:115]
	v_add_f64 v[120:121], v[120:121], v[124:125]
	v_fma_f64 v[64:65], v[28:29], s[14:15], -v[64:65]
	v_fmac_f64_e32 v[116:117], s[14:15], v[18:19]
	v_mul_f64 v[126:127], v[232:233], s[36:37]
	v_add_f64 v[66:67], v[64:65], v[66:67]
	v_add_f64 v[64:65], v[116:117], v[120:121]
	v_mul_f64 v[120:121], v[238:239], s[44:45]
	v_add_f64 v[30:31], v[30:31], -v[244:245]
	v_mul_f64 v[128:129], v[4:5], s[30:31]
	v_add_f64 v[112:113], v[112:113], -v[120:121]
	;; [unrolled: 2-line block ×3, first 2 shown]
	v_add_f64 v[30:31], v[198:199], v[30:31]
	v_add_f64 v[110:111], v[110:111], -v[120:121]
	v_mul_f64 v[120:121], v[24:25], s[16:17]
	v_add_f64 v[98:99], v[98:99], -v[128:129]
	v_add_f64 v[30:31], v[54:55], v[30:31]
	v_add_f64 v[106:107], v[106:107], -v[120:121]
	v_add_f64 v[30:31], v[98:99], v[30:31]
	v_add_f64 v[30:31], v[106:107], v[30:31]
	v_mul_f64 v[106:107], v[18:19], s[2:3]
	v_add_f64 v[30:31], v[110:111], v[30:31]
	v_add_f64 v[106:107], v[106:107], v[108:109]
	v_mul_f64 v[108:109], v[6:7], s[18:19]
	v_add_f64 v[102:103], v[108:109], v[102:103]
	v_add_f64 v[108:109], v[112:113], v[30:31]
	v_accvgpr_read_b32 v30, a132
	v_mul_f64 v[244:245], v[36:37], s[10:11]
	v_accvgpr_read_b32 v31, a133
	v_mul_f64 v[246:247], v[188:189], s[22:23]
	v_add_f64 v[16:17], v[30:31], v[16:17]
	v_add_f64 v[30:31], v[96:97], -v[244:245]
	v_accvgpr_read_b32 v96, a128
	v_mul_f64 v[130:131], v[228:229], s[28:29]
	v_add_f64 v[38:39], v[246:247], v[38:39]
	v_add_f64 v[16:17], v[196:197], v[16:17]
	v_accvgpr_read_b32 v97, a129
	v_add_f64 v[60:61], v[134:135], v[60:61]
	v_mul_f64 v[134:135], v[232:233], s[26:27]
	v_mul_f64 v[126:127], v[248:249], s[8:9]
	v_add_f64 v[130:131], v[130:131], v[194:195]
	v_add_f64 v[16:17], v[38:39], v[16:17]
	v_add_f64 v[0:1], v[0:1], -v[96:97]
	v_mul_f64 v[132:133], v[4:5], s[38:39]
	v_add_f64 v[94:95], v[126:127], v[94:95]
	v_add_f64 v[16:17], v[130:131], v[16:17]
	v_add_f64 v[22:23], v[22:23], -v[134:135]
	v_add_f64 v[0:1], v[198:199], v[0:1]
	v_mul_f64 v[128:129], v[24:25], s[30:31]
	v_add_f64 v[16:17], v[94:95], v[16:17]
	v_add_f64 v[94:95], v[166:167], -v[132:133]
	v_add_f64 v[0:1], v[22:23], v[0:1]
	v_add_f64 v[38:39], v[230:231], -v[128:129]
	v_add_f64 v[0:1], v[94:95], v[0:1]
	v_add_f64 v[0:1], v[38:39], v[0:1]
	v_accvgpr_read_b32 v38, a122
	v_mul_f64 v[98:99], v[6:7], s[2:3]
	v_accvgpr_read_b32 v39, a123
	v_add_f64 v[22:23], v[98:99], v[90:91]
	v_add_f64 v[14:15], v[38:39], v[14:15]
	v_accvgpr_read_b32 v38, a120
	v_accvgpr_read_b32 v90, a134
	;; [unrolled: 1-line block ×4, first 2 shown]
	v_add_f64 v[38:39], v[38:39], v[90:91]
	v_mul_f64 v[114:115], v[228:229], s[14:15]
	v_add_f64 v[38:39], v[196:197], v[38:39]
	v_mul_f64 v[120:121], v[248:249], s[28:29]
	v_add_f64 v[34:35], v[114:115], v[34:35]
	v_add_f64 v[14:15], v[14:15], v[38:39]
	;; [unrolled: 1-line block ×5, first 2 shown]
	v_mul_f64 v[54:55], v[36:37], s[40:41]
	v_add_f64 v[14:15], v[30:31], v[14:15]
	v_add_f64 v[14:15], v[22:23], v[14:15]
	v_add_f64 v[22:23], v[52:53], -v[54:55]
	v_accvgpr_read_b32 v38, a116
	v_accvgpr_read_b32 v52, a130
	;; [unrolled: 1-line block ×6, first 2 shown]
	v_add_f64 v[38:39], v[52:53], -v[38:39]
	v_mul_f64 v[118:119], v[4:5], s[26:27]
	v_add_f64 v[34:35], v[254:255], -v[34:35]
	v_add_f64 v[38:39], v[198:199], v[38:39]
	v_mul_f64 v[116:117], v[24:25], s[36:37]
	v_add_f64 v[20:21], v[20:21], -v[118:119]
	v_add_f64 v[34:35], v[34:35], v[38:39]
	v_mul_f64 v[124:125], v[248:249], s[22:23]
	v_add_f64 v[30:31], v[164:165], -v[116:117]
	v_add_f64 v[20:21], v[20:21], v[34:35]
	v_add_f64 v[20:21], v[30:31], v[20:21]
	v_add_f64 v[30:31], v[124:125], v[32:33]
	v_accvgpr_read_b32 v32, a114
	v_accvgpr_read_b32 v34, a126
	;; [unrolled: 1-line block ×4, first 2 shown]
	v_add_f64 v[32:33], v[32:33], v[34:35]
	v_accvgpr_read_b32 v34, a112
	v_accvgpr_read_b32 v38, a124
	;; [unrolled: 1-line block ×4, first 2 shown]
	v_mul_f64 v[246:247], v[238:239], s[34:35]
	v_add_f64 v[16:17], v[102:103], v[16:17]
	v_add_f64 v[34:35], v[34:35], v[38:39]
	v_mul_f64 v[122:123], v[228:229], s[18:19]
	v_mul_f64 v[194:195], v[18:19], s[22:23]
	v_add_f64 v[106:107], v[106:107], v[16:17]
	v_add_f64 v[16:17], v[104:105], -v[246:247]
	v_add_f64 v[34:35], v[196:197], v[34:35]
	v_mul_f64 v[126:127], v[238:239], s[30:31]
	v_add_f64 v[16:17], v[16:17], v[0:1]
	v_add_f64 v[0:1], v[194:195], v[100:101]
	;; [unrolled: 1-line block ×4, first 2 shown]
	v_mul_f64 v[250:251], v[6:7], s[8:9]
	v_add_f64 v[14:15], v[0:1], v[14:15]
	v_add_f64 v[0:1], v[92:93], -v[126:127]
	v_add_f64 v[20:21], v[22:23], v[20:21]
	v_add_f64 v[12:13], v[12:13], v[32:33]
	v_mul_f64 v[110:111], v[18:19], s[28:29]
	v_add_f64 v[22:23], v[0:1], v[20:21]
	v_add_f64 v[20:21], v[250:251], v[168:169]
	v_add_f64 v[12:13], v[30:31], v[12:13]
	v_add_f64 v[0:1], v[110:111], v[88:89]
	v_add_f64 v[12:13], v[20:21], v[12:13]
	s_mov_b32 s31, 0xbfddbe06
	v_add_f64 v[20:21], v[0:1], v[12:13]
	v_mul_f64 v[0:1], v[238:239], s[26:27]
	v_mul_f64 v[54:55], v[190:191], s[30:31]
	v_fma_f64 v[12:13], s[18:19], v[28:29], v[0:1]
	v_mul_f64 v[24:25], v[24:25], s[20:21]
	v_mul_f64 v[38:39], v[232:233], s[10:11]
	v_fma_f64 v[0:1], v[28:29], s[18:19], -v[0:1]
	v_fma_f64 v[28:29], v[136:137], s[28:29], -v[54:55]
	v_fma_f64 v[32:33], s[14:15], v[2:3], v[24:25]
	v_mul_f64 v[4:5], v[4:5], s[16:17]
	v_fma_f64 v[2:3], v[2:3], s[14:15], -v[24:25]
	v_fma_f64 v[24:25], v[192:193], s[2:3], -v[38:39]
	v_add_f64 v[28:29], v[198:199], v[28:29]
	v_mul_f64 v[34:35], v[36:37], s[34:35]
	v_fma_f64 v[36:37], s[8:9], v[234:235], v[4:5]
	v_fma_f64 v[4:5], v[234:235], s[8:9], -v[4:5]
	v_add_f64 v[24:25], v[24:25], v[28:29]
	v_add_f64 v[4:5], v[4:5], v[24:25]
	;; [unrolled: 1-line block ×3, first 2 shown]
	v_accvgpr_read_b32 v4, a110
	v_accvgpr_read_b32 v5, a111
	v_add_f64 v[4:5], v[198:199], v[4:5]
	v_add_f64 v[4:5], v[4:5], v[208:209]
	;; [unrolled: 1-line block ×7, first 2 shown]
	v_fma_f64 v[88:89], s[28:29], v[136:137], v[54:55]
	v_add_f64 v[4:5], v[4:5], v[222:223]
	v_fma_f64 v[52:53], s[2:3], v[192:193], v[38:39]
	v_add_f64 v[88:89], v[198:199], v[88:89]
	v_add_f64 v[4:5], v[4:5], v[86:87]
	;; [unrolled: 1-line block ×5, first 2 shown]
	v_mul_f64 v[26:27], v[26:27], s[34:35]
	v_add_f64 v[4:5], v[4:5], v[78:79]
	v_add_f64 v[32:33], v[32:33], v[36:37]
	v_fma_f64 v[36:37], v[6:7], s[22:23], -v[26:27]
	v_fmac_f64_e32 v[26:27], s[22:23], v[6:7]
	v_add_f64 v[6:7], v[4:5], v[72:73]
	v_add_f64 v[4:5], v[196:197], v[242:243]
	;; [unrolled: 1-line block ×4, first 2 shown]
	v_fma_f64 v[30:31], s[22:23], v[10:11], v[34:35]
	v_mul_f64 v[96:97], v[138:139], s[30:31]
	v_fma_f64 v[10:11], v[10:11], s[22:23], -v[34:35]
	v_add_f64 v[4:5], v[4:5], v[204:205]
	v_mul_f64 v[92:93], v[226:227], s[10:11]
	v_fma_f64 v[98:99], v[74:75], s[28:29], -v[96:97]
	v_add_f64 v[2:3], v[10:11], v[2:3]
	v_fmac_f64_e32 v[96:97], s[28:29], v[74:75]
	v_add_f64 v[4:5], v[4:5], v[206:207]
	v_mul_f64 v[88:89], v[252:253], s[16:17]
	v_fma_f64 v[94:95], v[188:189], s[2:3], -v[92:93]
	v_add_f64 v[2:3], v[0:1], v[2:3]
	v_fmac_f64_e32 v[92:93], s[2:3], v[188:189]
	v_add_f64 v[0:1], v[196:197], v[96:97]
	v_add_f64 v[4:5], v[4:5], v[68:69]
	v_mul_f64 v[8:9], v[8:9], s[20:21]
	v_fma_f64 v[90:91], v[228:229], s[8:9], -v[88:89]
	v_fmac_f64_e32 v[88:89], s[8:9], v[228:229]
	v_add_f64 v[0:1], v[92:93], v[0:1]
	v_add_f64 v[4:5], v[4:5], v[70:71]
	v_fma_f64 v[52:53], v[248:249], s[14:15], -v[8:9]
	v_fmac_f64_e32 v[8:9], s[14:15], v[248:249]
	v_add_f64 v[0:1], v[88:89], v[0:1]
	v_add_f64 v[4:5], v[4:5], v[212:213]
	;; [unrolled: 1-line block ×4, first 2 shown]
	v_accvgpr_read_b32 v8, a45
	v_add_f64 v[30:31], v[30:31], v[32:33]
	v_add_f64 v[98:99], v[196:197], v[98:99]
	;; [unrolled: 1-line block ×3, first 2 shown]
	v_mul_u32_u24_e32 v8, 26, v8
	v_accvgpr_read_b32 v9, a39
	v_add_f64 v[32:33], v[12:13], v[30:31]
	v_mul_f64 v[12:13], v[240:241], s[26:27]
	v_add_f64 v[94:95], v[94:95], v[98:99]
	v_add_f64 v[4:5], v[4:5], v[80:81]
	v_or_b32_e32 v8, v8, v9
	v_fma_f64 v[30:31], v[18:19], s[18:19], -v[12:13]
	v_add_f64 v[90:91], v[90:91], v[94:95]
	v_fmac_f64_e32 v[12:13], s[18:19], v[18:19]
	v_add_f64 v[0:1], v[26:27], v[0:1]
	v_add_f64 v[4:5], v[4:5], v[76:77]
	v_lshlrev_b32_e32 v8, 4, v8
	v_accvgpr_read_b32 v131, a93
	v_accvgpr_read_b32 v135, a97
	;; [unrolled: 1-line block ×4, first 2 shown]
	v_add_f64 v[52:53], v[52:53], v[90:91]
	v_add_f64 v[0:1], v[12:13], v[0:1]
	ds_write_b128 v8, v[4:7]
	ds_write_b128 v8, v[0:3] offset:32
	ds_write_b128 v8, v[20:23] offset:64
	;; [unrolled: 1-line block ×7, first 2 shown]
	v_accvgpr_read_b32 v143, a109
	v_accvgpr_read_b32 v244, a12
	;; [unrolled: 1-line block ×20, first 2 shown]
	v_add_f64 v[36:37], v[36:37], v[52:53]
	v_accvgpr_read_b32 v142, a108
	v_accvgpr_read_b32 v141, a107
	v_accvgpr_read_b32 v140, a106
	v_add_f64 v[30:31], v[30:31], v[36:37]
	ds_write_b128 v8, v[60:63] offset:256
	ds_write_b128 v8, v[40:43] offset:288
	;; [unrolled: 1-line block ×5, first 2 shown]
.LBB0_17:
	s_or_b64 exec, exec, s[24:25]
	s_waitcnt lgkmcnt(0)
	s_barrier
	ds_read_b128 v[60:63], v236
	ds_read_b128 v[56:59], v236 offset:1872
	ds_read_b128 v[76:79], v236 offset:12480
	;; [unrolled: 1-line block ×8, first 2 shown]
	s_and_saveexec_b64 s[0:1], vcc
	s_cbranch_execz .LBB0_19
; %bb.18:
	ds_read_b128 v[40:43], v236 offset:5616
	ds_read_b128 v[48:51], v236 offset:11856
	;; [unrolled: 1-line block ×3, first 2 shown]
.LBB0_19:
	s_or_b64 exec, exec, s[0:1]
	v_accvgpr_read_b32 v2, a54
	v_accvgpr_read_b32 v4, a56
	;; [unrolled: 1-line block ×4, first 2 shown]
	s_waitcnt lgkmcnt(4)
	v_mul_f64 v[14:15], v[4:5], v[86:87]
	v_mul_f64 v[0:1], v[4:5], v[84:85]
	v_fmac_f64_e32 v[14:15], v[2:3], v[84:85]
	v_fma_f64 v[16:17], v[2:3], v[86:87], -v[0:1]
	v_accvgpr_read_b32 v2, a50
	v_accvgpr_read_b32 v4, a52
	;; [unrolled: 1-line block ×4, first 2 shown]
	v_mul_f64 v[18:19], v[4:5], v[78:79]
	v_mul_f64 v[0:1], v[4:5], v[76:77]
	v_fmac_f64_e32 v[18:19], v[2:3], v[76:77]
	v_fma_f64 v[20:21], v[2:3], v[78:79], -v[0:1]
	v_accvgpr_read_b32 v2, a62
	v_accvgpr_read_b32 v4, a64
	;; [unrolled: 1-line block ×4, first 2 shown]
	s_waitcnt lgkmcnt(2)
	v_mul_f64 v[22:23], v[4:5], v[82:83]
	v_mul_f64 v[0:1], v[4:5], v[80:81]
	v_fmac_f64_e32 v[22:23], v[2:3], v[80:81]
	v_fma_f64 v[24:25], v[2:3], v[82:83], -v[0:1]
	v_accvgpr_read_b32 v2, a58
	v_accvgpr_read_b32 v4, a60
	;; [unrolled: 1-line block ×4, first 2 shown]
	v_mul_f64 v[26:27], v[4:5], v[74:75]
	v_mul_f64 v[0:1], v[4:5], v[72:73]
	v_fmac_f64_e32 v[26:27], v[2:3], v[72:73]
	v_fma_f64 v[28:29], v[2:3], v[74:75], -v[0:1]
	v_accvgpr_read_b32 v2, a70
	v_accvgpr_read_b32 v4, a72
	;; [unrolled: 1-line block ×4, first 2 shown]
	s_waitcnt lgkmcnt(1)
	v_mul_f64 v[30:31], v[4:5], v[70:71]
	v_mul_f64 v[0:1], v[4:5], v[68:69]
	v_fmac_f64_e32 v[30:31], v[2:3], v[68:69]
	v_fma_f64 v[32:33], v[2:3], v[70:71], -v[0:1]
	v_accvgpr_read_b32 v2, a66
	v_accvgpr_read_b32 v4, a68
	;; [unrolled: 1-line block ×3, first 2 shown]
	s_waitcnt lgkmcnt(0)
	v_mul_f64 v[34:35], v[4:5], v[66:67]
	v_mul_f64 v[0:1], v[4:5], v[64:65]
	v_accvgpr_read_b32 v4, a78
	v_accvgpr_read_b32 v3, a67
	;; [unrolled: 1-line block ×5, first 2 shown]
	v_fmac_f64_e32 v[34:35], v[2:3], v[64:65]
	v_fma_f64 v[36:37], v[2:3], v[66:67], -v[0:1]
	v_accvgpr_read_b32 v5, a79
	v_mul_f64 v[0:1], v[6:7], v[50:51]
	v_mul_f64 v[2:3], v[6:7], v[48:49]
	v_accvgpr_read_b32 v10, a76
	v_accvgpr_read_b32 v11, a77
	v_fmac_f64_e32 v[0:1], v[4:5], v[48:49]
	v_fma_f64 v[4:5], v[4:5], v[50:51], -v[2:3]
	v_accvgpr_read_b32 v9, a75
	v_mul_f64 v[2:3], v[10:11], v[46:47]
	v_mul_f64 v[6:7], v[10:11], v[44:45]
	v_add_f64 v[10:11], v[14:15], v[18:19]
	s_mov_b32 s0, 0xe8584caa
	v_fmac_f64_e32 v[2:3], v[8:9], v[44:45]
	v_fma_f64 v[6:7], v[8:9], v[46:47], -v[6:7]
	v_add_f64 v[8:9], v[60:61], v[14:15]
	v_fmac_f64_e32 v[60:61], -0.5, v[10:11]
	v_add_f64 v[10:11], v[16:17], -v[20:21]
	s_mov_b32 s1, 0xbfebb67a
	s_mov_b32 s3, 0x3febb67a
	;; [unrolled: 1-line block ×3, first 2 shown]
	v_fma_f64 v[12:13], s[0:1], v[10:11], v[60:61]
	v_fmac_f64_e32 v[60:61], s[2:3], v[10:11]
	v_add_f64 v[10:11], v[62:63], v[16:17]
	v_add_f64 v[16:17], v[16:17], v[20:21]
	;; [unrolled: 1-line block ×3, first 2 shown]
	v_fmac_f64_e32 v[62:63], -0.5, v[16:17]
	v_add_f64 v[16:17], v[14:15], -v[18:19]
	v_add_f64 v[18:19], v[22:23], v[26:27]
	v_fma_f64 v[14:15], s[2:3], v[16:17], v[62:63]
	v_fmac_f64_e32 v[62:63], s[0:1], v[16:17]
	v_add_f64 v[16:17], v[56:57], v[22:23]
	v_fmac_f64_e32 v[56:57], -0.5, v[18:19]
	v_add_f64 v[18:19], v[24:25], -v[28:29]
	v_add_f64 v[10:11], v[10:11], v[20:21]
	v_fma_f64 v[20:21], s[0:1], v[18:19], v[56:57]
	v_fmac_f64_e32 v[56:57], s[2:3], v[18:19]
	v_add_f64 v[18:19], v[58:59], v[24:25]
	v_add_f64 v[24:25], v[24:25], v[28:29]
	;; [unrolled: 1-line block ×3, first 2 shown]
	v_fmac_f64_e32 v[58:59], -0.5, v[24:25]
	v_add_f64 v[24:25], v[22:23], -v[26:27]
	v_add_f64 v[26:27], v[30:31], v[34:35]
	v_fma_f64 v[22:23], s[2:3], v[24:25], v[58:59]
	v_fmac_f64_e32 v[58:59], s[0:1], v[24:25]
	v_add_f64 v[24:25], v[52:53], v[30:31]
	v_fmac_f64_e32 v[52:53], -0.5, v[26:27]
	v_add_f64 v[26:27], v[32:33], -v[36:37]
	v_add_f64 v[18:19], v[18:19], v[28:29]
	v_fma_f64 v[28:29], s[0:1], v[26:27], v[52:53]
	v_fmac_f64_e32 v[52:53], s[2:3], v[26:27]
	v_add_f64 v[26:27], v[54:55], v[32:33]
	v_add_f64 v[32:33], v[32:33], v[36:37]
	v_fmac_f64_e32 v[54:55], -0.5, v[32:33]
	v_add_f64 v[32:33], v[30:31], -v[34:35]
	v_fma_f64 v[30:31], s[2:3], v[32:33], v[54:55]
	v_fmac_f64_e32 v[54:55], s[0:1], v[32:33]
	v_add_f64 v[32:33], v[0:1], v[2:3]
	v_fma_f64 v[48:49], -0.5, v[32:33], v[40:41]
	v_add_f64 v[32:33], v[4:5], -v[6:7]
	v_fma_f64 v[44:45], s[0:1], v[32:33], v[48:49]
	v_fmac_f64_e32 v[48:49], s[2:3], v[32:33]
	v_add_f64 v[32:33], v[4:5], v[6:7]
	v_fma_f64 v[50:51], -0.5, v[32:33], v[42:43]
	v_add_f64 v[32:33], v[0:1], -v[2:3]
	v_fma_f64 v[46:47], s[2:3], v[32:33], v[50:51]
	v_fmac_f64_e32 v[50:51], s[0:1], v[32:33]
	v_add_f64 v[24:25], v[24:25], v[34:35]
	v_add_f64 v[26:27], v[26:27], v[36:37]
	s_barrier
	ds_write_b128 v117, v[8:11]
	ds_write_b128 v117, v[12:15] offset:416
	ds_write_b128 v117, v[60:63] offset:832
	ds_write_b128 v118, v[16:19]
	ds_write_b128 v118, v[20:23] offset:416
	ds_write_b128 v118, v[56:59] offset:832
	;; [unrolled: 3-line block ×3, first 2 shown]
	s_and_saveexec_b64 s[0:1], vcc
	s_cbranch_execz .LBB0_21
; %bb.20:
	v_add_f64 v[0:1], v[40:41], v[0:1]
	s_movk_i32 s2, 0x4e
	v_add_f64 v[4:5], v[42:43], v[4:5]
	v_add_f64 v[2:3], v[0:1], v[2:3]
	v_mad_legacy_u16 v0, v115, s2, v116
	v_add_f64 v[4:5], v[4:5], v[6:7]
	v_lshlrev_b32_e32 v0, 4, v0
	ds_write_b128 v0, v[2:5]
	ds_write_b128 v0, v[44:47] offset:416
	ds_write_b128 v0, v[48:51] offset:832
.LBB0_21:
	s_or_b64 exec, exec, s[0:1]
	s_waitcnt lgkmcnt(0)
	s_barrier
	ds_read_b128 v[52:55], v236
	ds_read_b128 v[56:59], v236 offset:1872
	ds_read_b128 v[0:3], v236 offset:3744
	ds_read_b128 v[4:7], v236 offset:5616
	ds_read_b128 v[8:11], v236 offset:7488
	ds_read_b128 v[12:15], v236 offset:9360
	ds_read_b128 v[16:19], v236 offset:11232
	ds_read_b128 v[20:23], v236 offset:13104
	ds_read_b128 v[24:27], v236 offset:14976
	ds_read_b128 v[28:31], v236 offset:16848
	s_waitcnt lgkmcnt(7)
	v_mul_f64 v[32:33], v[134:135], v[2:3]
	v_fmac_f64_e32 v[32:33], v[132:133], v[0:1]
	v_mul_f64 v[0:1], v[134:135], v[0:1]
	v_fma_f64 v[34:35], v[132:133], v[2:3], -v[0:1]
	s_waitcnt lgkmcnt(5)
	v_mul_f64 v[0:1], v[130:131], v[8:9]
	v_mul_f64 v[36:37], v[130:131], v[10:11]
	v_fma_f64 v[38:39], v[128:129], v[10:11], -v[0:1]
	s_waitcnt lgkmcnt(3)
	v_mul_f64 v[40:41], v[126:127], v[18:19]
	v_mul_f64 v[0:1], v[126:127], v[16:17]
	v_fmac_f64_e32 v[36:37], v[128:129], v[8:9]
	v_fmac_f64_e32 v[40:41], v[124:125], v[16:17]
	v_fma_f64 v[16:17], v[124:125], v[18:19], -v[0:1]
	s_waitcnt lgkmcnt(1)
	v_mul_f64 v[0:1], v[122:123], v[24:25]
	v_mul_f64 v[10:11], v[122:123], v[26:27]
	v_fma_f64 v[18:19], v[120:121], v[26:27], -v[0:1]
	v_mul_f64 v[26:27], v[154:155], v[6:7]
	v_mul_f64 v[0:1], v[154:155], v[4:5]
	v_add_f64 v[2:3], v[36:37], v[40:41]
	s_mov_b32 s2, 0x134454ff
	v_fmac_f64_e32 v[10:11], v[120:121], v[24:25]
	v_fmac_f64_e32 v[26:27], v[152:153], v[4:5]
	v_fma_f64 v[60:61], v[152:153], v[6:7], -v[0:1]
	v_mul_f64 v[62:63], v[150:151], v[14:15]
	v_mul_f64 v[0:1], v[150:151], v[12:13]
	v_fma_f64 v[4:5], -0.5, v[2:3], v[52:53]
	v_add_f64 v[2:3], v[34:35], -v[18:19]
	s_mov_b32 s3, 0xbfee6f0e
	s_mov_b32 s0, 0x4755a5e
	s_mov_b32 s11, 0x3fee6f0e
	s_mov_b32 s10, s2
	v_fmac_f64_e32 v[62:63], v[148:149], v[12:13]
	v_fma_f64 v[64:65], v[148:149], v[14:15], -v[0:1]
	v_fma_f64 v[8:9], s[2:3], v[2:3], v[4:5]
	v_add_f64 v[6:7], v[38:39], -v[16:17]
	s_mov_b32 s1, 0xbfe2cf23
	v_add_f64 v[12:13], v[32:33], -v[36:37]
	v_add_f64 v[14:15], v[10:11], -v[40:41]
	s_mov_b32 s8, 0x372fe950
	v_fmac_f64_e32 v[4:5], s[10:11], v[2:3]
	s_mov_b32 s15, 0x3fe2cf23
	s_mov_b32 s14, s0
	v_mul_f64 v[0:1], v[146:147], v[20:21]
	v_fmac_f64_e32 v[8:9], s[0:1], v[6:7]
	v_add_f64 v[12:13], v[12:13], v[14:15]
	s_mov_b32 s9, 0x3fd3c6ef
	v_fmac_f64_e32 v[4:5], s[14:15], v[6:7]
	v_mul_f64 v[66:67], v[146:147], v[22:23]
	v_fma_f64 v[68:69], v[144:145], v[22:23], -v[0:1]
	s_waitcnt lgkmcnt(0)
	v_mul_f64 v[22:23], v[142:143], v[30:31]
	v_mul_f64 v[0:1], v[142:143], v[28:29]
	v_fmac_f64_e32 v[8:9], s[8:9], v[12:13]
	v_fmac_f64_e32 v[4:5], s[8:9], v[12:13]
	v_add_f64 v[12:13], v[32:33], v[10:11]
	v_fmac_f64_e32 v[22:23], v[140:141], v[28:29]
	v_fma_f64 v[28:29], v[140:141], v[30:31], -v[0:1]
	v_add_f64 v[0:1], v[52:53], v[32:33]
	v_fmac_f64_e32 v[52:53], -0.5, v[12:13]
	v_fmac_f64_e32 v[66:67], v[144:145], v[20:21]
	v_add_f64 v[0:1], v[0:1], v[36:37]
	v_fma_f64 v[12:13], s[10:11], v[6:7], v[52:53]
	v_add_f64 v[14:15], v[36:37], -v[32:33]
	v_add_f64 v[20:21], v[40:41], -v[10:11]
	v_fmac_f64_e32 v[52:53], s[2:3], v[6:7]
	v_add_f64 v[6:7], v[38:39], v[16:17]
	v_add_f64 v[0:1], v[0:1], v[40:41]
	v_fmac_f64_e32 v[12:13], s[0:1], v[2:3]
	v_add_f64 v[14:15], v[14:15], v[20:21]
	v_fmac_f64_e32 v[52:53], s[14:15], v[2:3]
	v_fma_f64 v[6:7], -0.5, v[6:7], v[54:55]
	v_add_f64 v[20:21], v[32:33], -v[10:11]
	v_add_f64 v[0:1], v[0:1], v[10:11]
	v_fmac_f64_e32 v[12:13], s[8:9], v[14:15]
	v_fmac_f64_e32 v[52:53], s[8:9], v[14:15]
	v_add_f64 v[2:3], v[54:55], v[34:35]
	v_fma_f64 v[10:11], s[10:11], v[20:21], v[6:7]
	v_add_f64 v[24:25], v[36:37], -v[40:41]
	v_add_f64 v[14:15], v[34:35], -v[38:39]
	;; [unrolled: 1-line block ×3, first 2 shown]
	v_fmac_f64_e32 v[6:7], s[2:3], v[20:21]
	v_add_f64 v[2:3], v[2:3], v[38:39]
	v_fmac_f64_e32 v[10:11], s[14:15], v[24:25]
	v_add_f64 v[14:15], v[14:15], v[30:31]
	;; [unrolled: 2-line block ×3, first 2 shown]
	v_fmac_f64_e32 v[10:11], s[8:9], v[14:15]
	v_fmac_f64_e32 v[6:7], s[8:9], v[14:15]
	v_add_f64 v[14:15], v[34:35], v[18:19]
	v_add_f64 v[2:3], v[2:3], v[18:19]
	v_fmac_f64_e32 v[54:55], -0.5, v[14:15]
	v_add_f64 v[16:17], v[16:17], -v[18:19]
	v_add_f64 v[18:19], v[62:63], v[66:67]
	v_fma_f64 v[14:15], s[2:3], v[24:25], v[54:55]
	v_add_f64 v[30:31], v[38:39], -v[34:35]
	v_fmac_f64_e32 v[54:55], s[10:11], v[24:25]
	v_fma_f64 v[40:41], -0.5, v[18:19], v[56:57]
	v_add_f64 v[18:19], v[60:61], -v[28:29]
	v_fmac_f64_e32 v[14:15], s[14:15], v[20:21]
	v_add_f64 v[16:17], v[30:31], v[16:17]
	v_fmac_f64_e32 v[54:55], s[0:1], v[20:21]
	v_fma_f64 v[20:21], s[2:3], v[18:19], v[40:41]
	v_add_f64 v[30:31], v[64:65], -v[68:69]
	v_add_f64 v[24:25], v[26:27], -v[62:63]
	;; [unrolled: 1-line block ×3, first 2 shown]
	v_fmac_f64_e32 v[40:41], s[10:11], v[18:19]
	v_fmac_f64_e32 v[20:21], s[0:1], v[30:31]
	v_add_f64 v[24:25], v[24:25], v[32:33]
	v_fmac_f64_e32 v[40:41], s[14:15], v[30:31]
	v_fmac_f64_e32 v[20:21], s[8:9], v[24:25]
	;; [unrolled: 1-line block ×3, first 2 shown]
	v_add_f64 v[24:25], v[26:27], v[22:23]
	v_fmac_f64_e32 v[14:15], s[8:9], v[16:17]
	v_fmac_f64_e32 v[54:55], s[8:9], v[16:17]
	v_add_f64 v[16:17], v[56:57], v[26:27]
	v_fmac_f64_e32 v[56:57], -0.5, v[24:25]
	v_add_f64 v[16:17], v[16:17], v[62:63]
	v_fma_f64 v[24:25], s[10:11], v[30:31], v[56:57]
	v_add_f64 v[32:33], v[62:63], -v[26:27]
	v_add_f64 v[34:35], v[66:67], -v[22:23]
	v_fmac_f64_e32 v[56:57], s[2:3], v[30:31]
	v_add_f64 v[30:31], v[64:65], v[68:69]
	v_add_f64 v[16:17], v[16:17], v[66:67]
	v_fmac_f64_e32 v[24:25], s[0:1], v[18:19]
	v_add_f64 v[32:33], v[32:33], v[34:35]
	v_fmac_f64_e32 v[56:57], s[14:15], v[18:19]
	v_fma_f64 v[42:43], -0.5, v[30:31], v[58:59]
	v_add_f64 v[30:31], v[26:27], -v[22:23]
	v_add_f64 v[16:17], v[16:17], v[22:23]
	v_fmac_f64_e32 v[24:25], s[8:9], v[32:33]
	v_fmac_f64_e32 v[56:57], s[8:9], v[32:33]
	v_fma_f64 v[22:23], s[10:11], v[30:31], v[42:43]
	v_add_f64 v[32:33], v[62:63], -v[66:67]
	v_add_f64 v[26:27], v[60:61], -v[64:65]
	;; [unrolled: 1-line block ×3, first 2 shown]
	v_fmac_f64_e32 v[42:43], s[2:3], v[30:31]
	v_add_f64 v[18:19], v[58:59], v[60:61]
	v_fmac_f64_e32 v[22:23], s[14:15], v[32:33]
	v_add_f64 v[26:27], v[26:27], v[34:35]
	;; [unrolled: 2-line block ×3, first 2 shown]
	v_fmac_f64_e32 v[22:23], s[8:9], v[26:27]
	v_fmac_f64_e32 v[42:43], s[8:9], v[26:27]
	v_add_f64 v[26:27], v[60:61], v[28:29]
	v_add_f64 v[18:19], v[18:19], v[68:69]
	v_fmac_f64_e32 v[58:59], -0.5, v[26:27]
	v_add_f64 v[18:19], v[18:19], v[28:29]
	v_fma_f64 v[26:27], s[2:3], v[32:33], v[58:59]
	v_add_f64 v[34:35], v[64:65], -v[60:61]
	v_add_f64 v[28:29], v[68:69], -v[28:29]
	v_fmac_f64_e32 v[58:59], s[10:11], v[32:33]
	v_add_f64 v[28:29], v[34:35], v[28:29]
	v_fmac_f64_e32 v[58:59], s[0:1], v[30:31]
	v_fmac_f64_e32 v[26:27], s[14:15], v[30:31]
	;; [unrolled: 1-line block ×4, first 2 shown]
	s_barrier
	ds_write_b128 v237, v[0:3]
	ds_write_b128 v237, v[8:11] offset:1248
	ds_write_b128 v237, v[12:15] offset:2496
	;; [unrolled: 1-line block ×4, first 2 shown]
	ds_write_b128 v114, v[16:19]
	ds_write_b128 v114, v[20:23] offset:1248
	ds_write_b128 v114, v[24:27] offset:2496
	;; [unrolled: 1-line block ×4, first 2 shown]
	s_waitcnt lgkmcnt(0)
	s_barrier
	ds_read_b128 v[60:63], v236
	ds_read_b128 v[56:59], v236 offset:1872
	ds_read_b128 v[76:79], v236 offset:12480
	;; [unrolled: 1-line block ×8, first 2 shown]
	s_and_saveexec_b64 s[0:1], vcc
	s_cbranch_execz .LBB0_23
; %bb.22:
	ds_read_b128 v[40:43], v236 offset:5616
	ds_read_b128 v[44:47], v236 offset:11856
	;; [unrolled: 1-line block ×3, first 2 shown]
.LBB0_23:
	s_or_b64 exec, exec, s[0:1]
	s_waitcnt lgkmcnt(4)
	v_mul_f64 v[0:1], v[158:159], v[84:85]
	v_fma_f64 v[8:9], v[156:157], v[86:87], -v[0:1]
	v_mul_f64 v[0:1], v[162:163], v[76:77]
	v_fma_f64 v[12:13], v[160:161], v[78:79], -v[0:1]
	s_waitcnt lgkmcnt(2)
	v_mul_f64 v[0:1], v[174:175], v[80:81]
	v_mul_f64 v[6:7], v[158:159], v[86:87]
	;; [unrolled: 1-line block ×3, first 2 shown]
	v_fma_f64 v[16:17], v[172:173], v[82:83], -v[0:1]
	v_mul_f64 v[0:1], v[178:179], v[72:73]
	v_fmac_f64_e32 v[6:7], v[156:157], v[84:85]
	v_fmac_f64_e32 v[10:11], v[160:161], v[76:77]
	v_fma_f64 v[20:21], v[176:177], v[74:75], -v[0:1]
	s_waitcnt lgkmcnt(1)
	v_mul_f64 v[0:1], v[182:183], v[68:69]
	v_fma_f64 v[24:25], v[180:181], v[70:71], -v[0:1]
	s_waitcnt lgkmcnt(0)
	v_mul_f64 v[0:1], v[186:187], v[64:65]
	v_add_f64 v[2:3], v[6:7], v[10:11]
	s_mov_b32 s0, 0xe8584caa
	v_mul_f64 v[14:15], v[174:175], v[82:83]
	v_mul_f64 v[18:19], v[178:179], v[74:75]
	v_fma_f64 v[28:29], v[184:185], v[66:67], -v[0:1]
	v_add_f64 v[0:1], v[60:61], v[6:7]
	v_fmac_f64_e32 v[60:61], -0.5, v[2:3]
	v_add_f64 v[2:3], v[8:9], -v[12:13]
	s_mov_b32 s1, 0xbfebb67a
	s_mov_b32 s3, 0x3febb67a
	;; [unrolled: 1-line block ×3, first 2 shown]
	v_fmac_f64_e32 v[14:15], v[172:173], v[80:81]
	v_fmac_f64_e32 v[18:19], v[176:177], v[72:73]
	v_fma_f64 v[4:5], s[0:1], v[2:3], v[60:61]
	v_fmac_f64_e32 v[60:61], s[2:3], v[2:3]
	v_add_f64 v[2:3], v[62:63], v[8:9]
	v_add_f64 v[8:9], v[8:9], v[12:13]
	;; [unrolled: 1-line block ×3, first 2 shown]
	v_fmac_f64_e32 v[62:63], -0.5, v[8:9]
	v_add_f64 v[8:9], v[6:7], -v[10:11]
	v_add_f64 v[10:11], v[14:15], v[18:19]
	v_mul_f64 v[22:23], v[182:183], v[70:71]
	v_mul_f64 v[26:27], v[186:187], v[66:67]
	v_fma_f64 v[6:7], s[2:3], v[8:9], v[62:63]
	v_fmac_f64_e32 v[62:63], s[0:1], v[8:9]
	v_add_f64 v[8:9], v[56:57], v[14:15]
	v_fmac_f64_e32 v[56:57], -0.5, v[10:11]
	v_add_f64 v[10:11], v[16:17], -v[20:21]
	v_fmac_f64_e32 v[22:23], v[180:181], v[68:69]
	v_fmac_f64_e32 v[26:27], v[184:185], v[64:65]
	v_add_f64 v[2:3], v[2:3], v[12:13]
	v_fma_f64 v[12:13], s[0:1], v[10:11], v[56:57]
	v_fmac_f64_e32 v[56:57], s[2:3], v[10:11]
	v_add_f64 v[10:11], v[58:59], v[16:17]
	v_add_f64 v[16:17], v[16:17], v[20:21]
	;; [unrolled: 1-line block ×3, first 2 shown]
	v_fmac_f64_e32 v[58:59], -0.5, v[16:17]
	v_add_f64 v[16:17], v[14:15], -v[18:19]
	v_add_f64 v[18:19], v[22:23], v[26:27]
	v_fma_f64 v[14:15], s[2:3], v[16:17], v[58:59]
	v_fmac_f64_e32 v[58:59], s[0:1], v[16:17]
	v_add_f64 v[16:17], v[52:53], v[22:23]
	v_fmac_f64_e32 v[52:53], -0.5, v[18:19]
	v_add_f64 v[18:19], v[24:25], -v[28:29]
	v_add_f64 v[10:11], v[10:11], v[20:21]
	v_fma_f64 v[20:21], s[0:1], v[18:19], v[52:53]
	v_fmac_f64_e32 v[52:53], s[2:3], v[18:19]
	v_add_f64 v[18:19], v[54:55], v[24:25]
	v_add_f64 v[24:25], v[24:25], v[28:29]
	v_fmac_f64_e32 v[54:55], -0.5, v[24:25]
	v_add_f64 v[24:25], v[22:23], -v[26:27]
	v_add_f64 v[16:17], v[16:17], v[26:27]
	v_add_f64 v[18:19], v[18:19], v[28:29]
	v_fma_f64 v[22:23], s[2:3], v[24:25], v[54:55]
	v_fmac_f64_e32 v[54:55], s[0:1], v[24:25]
	ds_write_b128 v236, v[0:3]
	ds_write_b128 v236, v[4:7] offset:6240
	ds_write_b128 v236, v[60:63] offset:12480
	;; [unrolled: 1-line block ×8, first 2 shown]
	s_and_saveexec_b64 s[8:9], vcc
	s_cbranch_execz .LBB0_25
; %bb.24:
	v_accvgpr_read_b32 v10, a98
	v_accvgpr_read_b32 v12, a100
	v_accvgpr_read_b32 v13, a101
	v_accvgpr_read_b32 v16, a102
	v_accvgpr_read_b32 v11, a99
	v_mul_f64 v[0:1], v[12:13], v[44:45]
	v_accvgpr_read_b32 v18, a104
	v_accvgpr_read_b32 v19, a105
	v_fma_f64 v[4:5], v[10:11], v[46:47], -v[0:1]
	v_accvgpr_read_b32 v17, a103
	v_mul_f64 v[0:1], v[18:19], v[48:49]
	v_fma_f64 v[8:9], v[16:17], v[50:51], -v[0:1]
	v_mul_f64 v[12:13], v[12:13], v[46:47]
	v_mul_f64 v[14:15], v[18:19], v[50:51]
	v_add_f64 v[0:1], v[4:5], v[8:9]
	v_fmac_f64_e32 v[12:13], v[10:11], v[44:45]
	v_fmac_f64_e32 v[14:15], v[16:17], v[48:49]
	v_fma_f64 v[2:3], -0.5, v[0:1], v[42:43]
	v_add_f64 v[0:1], v[12:13], -v[14:15]
	v_fma_f64 v[6:7], s[0:1], v[0:1], v[2:3]
	v_fmac_f64_e32 v[2:3], s[2:3], v[0:1]
	v_add_f64 v[0:1], v[42:43], v[4:5]
	v_add_f64 v[10:11], v[0:1], v[8:9]
	;; [unrolled: 1-line block ×3, first 2 shown]
	v_fma_f64 v[0:1], -0.5, v[0:1], v[40:41]
	v_add_f64 v[8:9], v[4:5], -v[8:9]
	v_fma_f64 v[4:5], s[2:3], v[8:9], v[0:1]
	v_fmac_f64_e32 v[0:1], s[0:1], v[8:9]
	v_add_f64 v[8:9], v[40:41], v[12:13]
	v_add_f64 v[8:9], v[8:9], v[14:15]
	ds_write_b128 v236, v[8:11] offset:5616
	ds_write_b128 v236, v[0:3] offset:11856
	;; [unrolled: 1-line block ×3, first 2 shown]
.LBB0_25:
	s_or_b64 exec, exec, s[8:9]
	s_waitcnt lgkmcnt(0)
	s_barrier
	ds_read_b128 v[0:3], v236
	v_accvgpr_read_b32 v6, a38
	v_mad_u64_u32 v[14:15], s[0:1], s6, v6, 0
	v_mov_b32_e32 v4, v15
	v_accvgpr_read_b32 v16, a26
	v_mad_u64_u32 v[4:5], s[0:1], s7, v6, v[4:5]
	v_accvgpr_read_b32 v18, a28
	v_accvgpr_read_b32 v19, a29
	v_mov_b32_e32 v15, v4
	ds_read_b128 v[4:7], v236 offset:1872
	v_accvgpr_read_b32 v17, a27
	s_waitcnt lgkmcnt(1)
	v_mul_f64 v[8:9], v[18:19], v[2:3]
	v_fmac_f64_e32 v[8:9], v[16:17], v[0:1]
	s_mov_b32 s0, 0x1c01c01c
	v_mul_f64 v[0:1], v[18:19], v[0:1]
	s_mov_b32 s1, 0x3f4c01c0
	v_fma_f64 v[0:1], v[16:17], v[2:3], -v[0:1]
	v_mad_u64_u32 v[16:17], s[2:3], s4, v244, 0
	v_mul_f64 v[10:11], v[0:1], s[0:1]
	v_mov_b32_e32 v0, v17
	v_mad_u64_u32 v[0:1], s[2:3], s5, v244, v[0:1]
	v_mov_b32_e32 v17, v0
	ds_read_b128 v[0:3], v236 offset:9360
	v_mov_b32_e32 v12, s12
	v_mov_b32_e32 v13, s13
	v_lshl_add_u64 v[12:13], v[14:15], 4, v[12:13]
	v_accvgpr_read_b32 v21, a7
	v_mul_f64 v[8:9], v[8:9], s[0:1]
	v_lshl_add_u64 v[16:17], v[16:17], 4, v[12:13]
	v_accvgpr_read_b32 v20, a6
	global_store_dwordx4 v[16:17], v[8:11], off
	ds_read_b128 v[8:11], v236 offset:7488
	v_accvgpr_read_b32 v19, a5
	v_accvgpr_read_b32 v18, a4
	s_waitcnt lgkmcnt(1)
	v_mul_f64 v[12:13], v[20:21], v[2:3]
	v_fmac_f64_e32 v[12:13], v[18:19], v[0:1]
	v_mul_f64 v[0:1], v[20:21], v[0:1]
	v_mov_b32_e32 v22, 0x2490
	v_fma_f64 v[0:1], v[18:19], v[2:3], -v[0:1]
	v_mad_u64_u32 v[16:17], s[2:3], s4, v22, v[16:17]
	s_mul_i32 s6, s5, 0x2490
	v_mul_f64 v[12:13], v[12:13], s[0:1]
	v_mul_f64 v[14:15], v[0:1], s[0:1]
	v_add_u32_e32 v17, s6, v17
	global_store_dwordx4 v[16:17], v[12:15], off
	v_mov_b32_e32 v23, 0xffffe2c0
	v_mad_u64_u32 v[16:17], s[2:3], s4, v23, v[16:17]
	v_accvgpr_read_b32 v15, a3
	v_accvgpr_read_b32 v14, a2
	;; [unrolled: 1-line block ×4, first 2 shown]
	v_mul_f64 v[0:1], v[14:15], v[6:7]
	v_mul_f64 v[2:3], v[14:15], v[4:5]
	v_fmac_f64_e32 v[0:1], v[12:13], v[4:5]
	v_fma_f64 v[2:3], v[12:13], v[6:7], -v[2:3]
	ds_read_b128 v[4:7], v236 offset:11232
	s_mul_i32 s2, s5, 0xffffe2c0
	s_sub_i32 s5, s2, s4
	v_accvgpr_read_b32 v21, a11
	v_mul_f64 v[0:1], v[0:1], s[0:1]
	v_mul_f64 v[2:3], v[2:3], s[0:1]
	v_add_u32_e32 v17, s5, v17
	v_accvgpr_read_b32 v20, a10
	global_store_dwordx4 v[16:17], v[0:3], off
	ds_read_b128 v[0:3], v236 offset:13104
	v_accvgpr_read_b32 v19, a9
	v_accvgpr_read_b32 v18, a8
	s_waitcnt lgkmcnt(1)
	v_mul_f64 v[12:13], v[20:21], v[6:7]
	v_fmac_f64_e32 v[12:13], v[18:19], v[4:5]
	v_mul_f64 v[4:5], v[20:21], v[4:5]
	v_fma_f64 v[4:5], v[18:19], v[6:7], -v[4:5]
	v_mul_f64 v[14:15], v[4:5], s[0:1]
	ds_read_b128 v[4:7], v236 offset:3744
	v_mad_u64_u32 v[20:21], s[2:3], s4, v22, v[16:17]
	v_accvgpr_read_b32 v27, a17
	v_mul_f64 v[12:13], v[12:13], s[0:1]
	v_add_u32_e32 v21, s6, v21
	v_accvgpr_read_b32 v26, a16
	global_store_dwordx4 v[20:21], v[12:15], off
	ds_read_b128 v[12:15], v236 offset:5616
	v_accvgpr_read_b32 v25, a15
	v_accvgpr_read_b32 v24, a14
	s_waitcnt lgkmcnt(1)
	v_mul_f64 v[16:17], v[26:27], v[6:7]
	v_fmac_f64_e32 v[16:17], v[24:25], v[4:5]
	v_mul_f64 v[4:5], v[26:27], v[4:5]
	v_fma_f64 v[4:5], v[24:25], v[6:7], -v[4:5]
	v_mad_u64_u32 v[20:21], s[2:3], s4, v23, v[20:21]
	v_mul_f64 v[16:17], v[16:17], s[0:1]
	v_mul_f64 v[18:19], v[4:5], s[0:1]
	v_add_u32_e32 v21, s5, v21
	global_store_dwordx4 v[20:21], v[16:19], off
	s_nop 1
	v_accvgpr_read_b32 v16, a18
	v_accvgpr_read_b32 v18, a20
	v_accvgpr_read_b32 v19, a21
	v_accvgpr_read_b32 v17, a19
	v_mul_f64 v[4:5], v[18:19], v[2:3]
	v_fmac_f64_e32 v[4:5], v[16:17], v[0:1]
	v_mul_f64 v[0:1], v[18:19], v[0:1]
	v_fma_f64 v[0:1], v[16:17], v[2:3], -v[0:1]
	v_mad_u64_u32 v[16:17], s[2:3], s4, v22, v[20:21]
	v_mul_f64 v[4:5], v[4:5], s[0:1]
	v_mul_f64 v[6:7], v[0:1], s[0:1]
	v_add_u32_e32 v17, s6, v17
	global_store_dwordx4 v[16:17], v[4:7], off
	v_mad_u64_u32 v[16:17], s[2:3], s4, v23, v[16:17]
	s_nop 0
	v_accvgpr_read_b32 v4, a30
	v_accvgpr_read_b32 v6, a32
	v_accvgpr_read_b32 v7, a33
	v_accvgpr_read_b32 v5, a31
	s_waitcnt lgkmcnt(0)
	v_mul_f64 v[0:1], v[6:7], v[14:15]
	v_mul_f64 v[2:3], v[6:7], v[12:13]
	v_fmac_f64_e32 v[0:1], v[4:5], v[12:13]
	v_fma_f64 v[2:3], v[4:5], v[14:15], -v[2:3]
	ds_read_b128 v[4:7], v236 offset:14976
	v_accvgpr_read_b32 v18, a22
	v_mul_f64 v[0:1], v[0:1], s[0:1]
	v_mul_f64 v[2:3], v[2:3], s[0:1]
	v_add_u32_e32 v17, s5, v17
	v_accvgpr_read_b32 v20, a24
	v_accvgpr_read_b32 v21, a25
	global_store_dwordx4 v[16:17], v[0:3], off
	ds_read_b128 v[0:3], v236 offset:16848
	v_accvgpr_read_b32 v19, a23
	s_waitcnt lgkmcnt(1)
	v_mul_f64 v[12:13], v[20:21], v[6:7]
	v_fmac_f64_e32 v[12:13], v[18:19], v[4:5]
	v_mul_f64 v[4:5], v[20:21], v[4:5]
	v_fma_f64 v[4:5], v[18:19], v[6:7], -v[4:5]
	v_mad_u64_u32 v[16:17], s[2:3], s4, v22, v[16:17]
	v_mul_f64 v[12:13], v[12:13], s[0:1]
	v_mul_f64 v[14:15], v[4:5], s[0:1]
	v_add_u32_e32 v17, s6, v17
	global_store_dwordx4 v[16:17], v[12:15], off
	s_nop 1
	v_accvgpr_read_b32 v12, a34
	v_accvgpr_read_b32 v14, a36
	;; [unrolled: 1-line block ×4, first 2 shown]
	v_mul_f64 v[4:5], v[14:15], v[10:11]
	v_mul_f64 v[6:7], v[14:15], v[8:9]
	v_fmac_f64_e32 v[4:5], v[12:13], v[8:9]
	v_fma_f64 v[6:7], v[12:13], v[10:11], -v[6:7]
	v_mad_u64_u32 v[8:9], s[2:3], s4, v23, v[16:17]
	v_accvgpr_read_b32 v10, a40
	v_mul_f64 v[4:5], v[4:5], s[0:1]
	v_mul_f64 v[6:7], v[6:7], s[0:1]
	v_add_u32_e32 v9, s5, v9
	v_accvgpr_read_b32 v12, a42
	v_accvgpr_read_b32 v13, a43
	global_store_dwordx4 v[8:9], v[4:7], off
	v_accvgpr_read_b32 v11, a41
	s_waitcnt lgkmcnt(0)
	v_mul_f64 v[4:5], v[12:13], v[2:3]
	v_fmac_f64_e32 v[4:5], v[10:11], v[0:1]
	v_mul_f64 v[0:1], v[12:13], v[0:1]
	v_fma_f64 v[0:1], v[10:11], v[2:3], -v[0:1]
	v_mul_f64 v[4:5], v[4:5], s[0:1]
	v_mul_f64 v[6:7], v[0:1], s[0:1]
	v_mad_u64_u32 v[0:1], s[0:1], s4, v22, v[8:9]
	v_add_u32_e32 v1, s6, v1
	global_store_dwordx4 v[0:1], v[4:7], off
.LBB0_26:
	s_endpgm
	.section	.rodata,"a",@progbits
	.p2align	6, 0x0
	.amdhsa_kernel bluestein_single_fwd_len1170_dim1_dp_op_CI_CI
		.amdhsa_group_segment_fixed_size 18720
		.amdhsa_private_segment_fixed_size 0
		.amdhsa_kernarg_size 104
		.amdhsa_user_sgpr_count 2
		.amdhsa_user_sgpr_dispatch_ptr 0
		.amdhsa_user_sgpr_queue_ptr 0
		.amdhsa_user_sgpr_kernarg_segment_ptr 1
		.amdhsa_user_sgpr_dispatch_id 0
		.amdhsa_user_sgpr_kernarg_preload_length 0
		.amdhsa_user_sgpr_kernarg_preload_offset 0
		.amdhsa_user_sgpr_private_segment_size 0
		.amdhsa_uses_dynamic_stack 0
		.amdhsa_enable_private_segment 0
		.amdhsa_system_sgpr_workgroup_id_x 1
		.amdhsa_system_sgpr_workgroup_id_y 0
		.amdhsa_system_sgpr_workgroup_id_z 0
		.amdhsa_system_sgpr_workgroup_info 0
		.amdhsa_system_vgpr_workitem_id 0
		.amdhsa_next_free_vgpr 392
		.amdhsa_next_free_sgpr 52
		.amdhsa_accum_offset 256
		.amdhsa_reserve_vcc 1
		.amdhsa_float_round_mode_32 0
		.amdhsa_float_round_mode_16_64 0
		.amdhsa_float_denorm_mode_32 3
		.amdhsa_float_denorm_mode_16_64 3
		.amdhsa_dx10_clamp 1
		.amdhsa_ieee_mode 1
		.amdhsa_fp16_overflow 0
		.amdhsa_tg_split 0
		.amdhsa_exception_fp_ieee_invalid_op 0
		.amdhsa_exception_fp_denorm_src 0
		.amdhsa_exception_fp_ieee_div_zero 0
		.amdhsa_exception_fp_ieee_overflow 0
		.amdhsa_exception_fp_ieee_underflow 0
		.amdhsa_exception_fp_ieee_inexact 0
		.amdhsa_exception_int_div_zero 0
	.end_amdhsa_kernel
	.text
.Lfunc_end0:
	.size	bluestein_single_fwd_len1170_dim1_dp_op_CI_CI, .Lfunc_end0-bluestein_single_fwd_len1170_dim1_dp_op_CI_CI
                                        ; -- End function
	.section	.AMDGPU.csdata,"",@progbits
; Kernel info:
; codeLenInByte = 22224
; NumSgprs: 58
; NumVgprs: 256
; NumAgprs: 136
; TotalNumVgprs: 392
; ScratchSize: 0
; MemoryBound: 0
; FloatMode: 240
; IeeeMode: 1
; LDSByteSize: 18720 bytes/workgroup (compile time only)
; SGPRBlocks: 7
; VGPRBlocks: 48
; NumSGPRsForWavesPerEU: 58
; NumVGPRsForWavesPerEU: 392
; AccumOffset: 256
; Occupancy: 1
; WaveLimiterHint : 1
; COMPUTE_PGM_RSRC2:SCRATCH_EN: 0
; COMPUTE_PGM_RSRC2:USER_SGPR: 2
; COMPUTE_PGM_RSRC2:TRAP_HANDLER: 0
; COMPUTE_PGM_RSRC2:TGID_X_EN: 1
; COMPUTE_PGM_RSRC2:TGID_Y_EN: 0
; COMPUTE_PGM_RSRC2:TGID_Z_EN: 0
; COMPUTE_PGM_RSRC2:TIDIG_COMP_CNT: 0
; COMPUTE_PGM_RSRC3_GFX90A:ACCUM_OFFSET: 63
; COMPUTE_PGM_RSRC3_GFX90A:TG_SPLIT: 0
	.text
	.p2alignl 6, 3212836864
	.fill 256, 4, 3212836864
	.type	__hip_cuid_334bdd2d6980873a,@object ; @__hip_cuid_334bdd2d6980873a
	.section	.bss,"aw",@nobits
	.globl	__hip_cuid_334bdd2d6980873a
__hip_cuid_334bdd2d6980873a:
	.byte	0                               ; 0x0
	.size	__hip_cuid_334bdd2d6980873a, 1

	.ident	"AMD clang version 19.0.0git (https://github.com/RadeonOpenCompute/llvm-project roc-6.4.0 25133 c7fe45cf4b819c5991fe208aaa96edf142730f1d)"
	.section	".note.GNU-stack","",@progbits
	.addrsig
	.addrsig_sym __hip_cuid_334bdd2d6980873a
	.amdgpu_metadata
---
amdhsa.kernels:
  - .agpr_count:     136
    .args:
      - .actual_access:  read_only
        .address_space:  global
        .offset:         0
        .size:           8
        .value_kind:     global_buffer
      - .actual_access:  read_only
        .address_space:  global
        .offset:         8
        .size:           8
        .value_kind:     global_buffer
      - .actual_access:  read_only
        .address_space:  global
        .offset:         16
        .size:           8
        .value_kind:     global_buffer
      - .actual_access:  read_only
        .address_space:  global
        .offset:         24
        .size:           8
        .value_kind:     global_buffer
      - .actual_access:  read_only
        .address_space:  global
        .offset:         32
        .size:           8
        .value_kind:     global_buffer
      - .offset:         40
        .size:           8
        .value_kind:     by_value
      - .address_space:  global
        .offset:         48
        .size:           8
        .value_kind:     global_buffer
      - .address_space:  global
        .offset:         56
        .size:           8
        .value_kind:     global_buffer
      - .address_space:  global
        .offset:         64
        .size:           8
        .value_kind:     global_buffer
      - .address_space:  global
        .offset:         72
        .size:           8
        .value_kind:     global_buffer
      - .offset:         80
        .size:           4
        .value_kind:     by_value
      - .address_space:  global
        .offset:         88
        .size:           8
        .value_kind:     global_buffer
      - .address_space:  global
        .offset:         96
        .size:           8
        .value_kind:     global_buffer
    .group_segment_fixed_size: 18720
    .kernarg_segment_align: 8
    .kernarg_segment_size: 104
    .language:       OpenCL C
    .language_version:
      - 2
      - 0
    .max_flat_workgroup_size: 117
    .name:           bluestein_single_fwd_len1170_dim1_dp_op_CI_CI
    .private_segment_fixed_size: 0
    .sgpr_count:     58
    .sgpr_spill_count: 0
    .symbol:         bluestein_single_fwd_len1170_dim1_dp_op_CI_CI.kd
    .uniform_work_group_size: 1
    .uses_dynamic_stack: false
    .vgpr_count:     392
    .vgpr_spill_count: 0
    .wavefront_size: 64
amdhsa.target:   amdgcn-amd-amdhsa--gfx950
amdhsa.version:
  - 1
  - 2
...

	.end_amdgpu_metadata
